;; amdgpu-corpus repo=ROCm/rocFFT kind=compiled arch=gfx950 opt=O3
	.text
	.amdgcn_target "amdgcn-amd-amdhsa--gfx950"
	.amdhsa_code_object_version 6
	.protected	fft_rtc_back_len1820_factors_10_13_7_2_wgs_182_tpt_182_halfLds_sp_op_CI_CI_unitstride_sbrr_C2R_dirReg ; -- Begin function fft_rtc_back_len1820_factors_10_13_7_2_wgs_182_tpt_182_halfLds_sp_op_CI_CI_unitstride_sbrr_C2R_dirReg
	.globl	fft_rtc_back_len1820_factors_10_13_7_2_wgs_182_tpt_182_halfLds_sp_op_CI_CI_unitstride_sbrr_C2R_dirReg
	.p2align	8
	.type	fft_rtc_back_len1820_factors_10_13_7_2_wgs_182_tpt_182_halfLds_sp_op_CI_CI_unitstride_sbrr_C2R_dirReg,@function
fft_rtc_back_len1820_factors_10_13_7_2_wgs_182_tpt_182_halfLds_sp_op_CI_CI_unitstride_sbrr_C2R_dirReg: ; @fft_rtc_back_len1820_factors_10_13_7_2_wgs_182_tpt_182_halfLds_sp_op_CI_CI_unitstride_sbrr_C2R_dirReg
; %bb.0:
	s_load_dwordx4 s[4:7], s[0:1], 0x58
	s_load_dwordx4 s[8:11], s[0:1], 0x0
	;; [unrolled: 1-line block ×3, first 2 shown]
	v_mul_u32_u24_e32 v1, 0x169, v0
	v_add_u32_sdwa v6, s2, v1 dst_sel:DWORD dst_unused:UNUSED_PAD src0_sel:DWORD src1_sel:WORD_1
	v_mov_b32_e32 v4, 0
	s_waitcnt lgkmcnt(0)
	v_cmp_lt_u64_e64 s[2:3], s[10:11], 2
	v_mov_b32_e32 v7, v4
	s_and_b64 vcc, exec, s[2:3]
	v_mov_b64_e32 v[2:3], 0
	s_cbranch_vccnz .LBB0_8
; %bb.1:
	s_load_dwordx2 s[2:3], s[0:1], 0x10
	s_add_u32 s16, s14, 8
	s_addc_u32 s17, s15, 0
	s_add_u32 s18, s12, 8
	s_addc_u32 s19, s13, 0
	s_waitcnt lgkmcnt(0)
	s_add_u32 s20, s2, 8
	v_mov_b64_e32 v[2:3], 0
	s_addc_u32 s21, s3, 0
	s_mov_b64 s[22:23], 1
	v_mov_b64_e32 v[24:25], v[2:3]
.LBB0_2:                                ; =>This Inner Loop Header: Depth=1
	s_load_dwordx2 s[24:25], s[20:21], 0x0
                                        ; implicit-def: $vgpr26_vgpr27
	s_waitcnt lgkmcnt(0)
	v_or_b32_e32 v5, s25, v7
	v_cmp_ne_u64_e32 vcc, 0, v[4:5]
	s_and_saveexec_b64 s[2:3], vcc
	s_xor_b64 s[26:27], exec, s[2:3]
	s_cbranch_execz .LBB0_4
; %bb.3:                                ;   in Loop: Header=BB0_2 Depth=1
	v_cvt_f32_u32_e32 v1, s24
	v_cvt_f32_u32_e32 v5, s25
	s_sub_u32 s2, 0, s24
	s_subb_u32 s3, 0, s25
	v_fmac_f32_e32 v1, 0x4f800000, v5
	v_rcp_f32_e32 v1, v1
	s_nop 0
	v_mul_f32_e32 v1, 0x5f7ffffc, v1
	v_mul_f32_e32 v5, 0x2f800000, v1
	v_trunc_f32_e32 v5, v5
	v_fmac_f32_e32 v1, 0xcf800000, v5
	v_cvt_u32_f32_e32 v5, v5
	v_cvt_u32_f32_e32 v1, v1
	v_mul_lo_u32 v8, s2, v5
	v_mul_hi_u32 v10, s2, v1
	v_mul_lo_u32 v9, s3, v1
	v_add_u32_e32 v10, v10, v8
	v_mul_lo_u32 v12, s2, v1
	v_add_u32_e32 v13, v10, v9
	v_mul_hi_u32 v8, v1, v12
	v_mul_hi_u32 v11, v1, v13
	v_mul_lo_u32 v10, v1, v13
	v_mov_b32_e32 v9, v4
	v_lshl_add_u64 v[8:9], v[8:9], 0, v[10:11]
	v_mul_hi_u32 v11, v5, v12
	v_mul_lo_u32 v12, v5, v12
	v_add_co_u32_e32 v8, vcc, v8, v12
	v_mul_hi_u32 v10, v5, v13
	s_nop 0
	v_addc_co_u32_e32 v8, vcc, v9, v11, vcc
	v_mov_b32_e32 v9, v4
	s_nop 0
	v_addc_co_u32_e32 v11, vcc, 0, v10, vcc
	v_mul_lo_u32 v10, v5, v13
	v_lshl_add_u64 v[8:9], v[8:9], 0, v[10:11]
	v_add_co_u32_e32 v1, vcc, v1, v8
	v_mul_lo_u32 v10, s2, v1
	s_nop 0
	v_addc_co_u32_e32 v5, vcc, v5, v9, vcc
	v_mul_lo_u32 v8, s2, v5
	v_mul_hi_u32 v9, s2, v1
	v_add_u32_e32 v8, v9, v8
	v_mul_lo_u32 v9, s3, v1
	v_add_u32_e32 v12, v8, v9
	v_mul_hi_u32 v14, v5, v10
	v_mul_lo_u32 v15, v5, v10
	v_mul_hi_u32 v9, v1, v12
	v_mul_lo_u32 v8, v1, v12
	v_mul_hi_u32 v10, v1, v10
	v_mov_b32_e32 v11, v4
	v_lshl_add_u64 v[8:9], v[10:11], 0, v[8:9]
	v_add_co_u32_e32 v8, vcc, v8, v15
	v_mul_hi_u32 v13, v5, v12
	s_nop 0
	v_addc_co_u32_e32 v8, vcc, v9, v14, vcc
	v_mul_lo_u32 v10, v5, v12
	s_nop 0
	v_addc_co_u32_e32 v11, vcc, 0, v13, vcc
	v_mov_b32_e32 v9, v4
	v_lshl_add_u64 v[8:9], v[8:9], 0, v[10:11]
	v_add_co_u32_e32 v1, vcc, v1, v8
	v_mul_hi_u32 v10, v6, v1
	s_nop 0
	v_addc_co_u32_e32 v5, vcc, v5, v9, vcc
	v_mad_u64_u32 v[8:9], s[2:3], v6, v5, 0
	v_mov_b32_e32 v11, v4
	v_lshl_add_u64 v[8:9], v[10:11], 0, v[8:9]
	v_mad_u64_u32 v[12:13], s[2:3], v7, v1, 0
	v_add_co_u32_e32 v1, vcc, v8, v12
	v_mad_u64_u32 v[10:11], s[2:3], v7, v5, 0
	s_nop 0
	v_addc_co_u32_e32 v8, vcc, v9, v13, vcc
	v_mov_b32_e32 v9, v4
	s_nop 0
	v_addc_co_u32_e32 v11, vcc, 0, v11, vcc
	v_lshl_add_u64 v[8:9], v[8:9], 0, v[10:11]
	v_mul_lo_u32 v1, s25, v8
	v_mul_lo_u32 v5, s24, v9
	v_mad_u64_u32 v[10:11], s[2:3], s24, v8, 0
	v_add3_u32 v1, v11, v5, v1
	v_sub_u32_e32 v5, v7, v1
	v_mov_b32_e32 v11, s25
	v_sub_co_u32_e32 v14, vcc, v6, v10
	v_lshl_add_u64 v[12:13], v[8:9], 0, 1
	s_nop 0
	v_subb_co_u32_e64 v5, s[2:3], v5, v11, vcc
	v_subrev_co_u32_e64 v10, s[2:3], s24, v14
	v_subb_co_u32_e32 v1, vcc, v7, v1, vcc
	s_nop 0
	v_subbrev_co_u32_e64 v5, s[2:3], 0, v5, s[2:3]
	v_cmp_le_u32_e64 s[2:3], s25, v5
	v_cmp_le_u32_e32 vcc, s25, v1
	s_nop 0
	v_cndmask_b32_e64 v11, 0, -1, s[2:3]
	v_cmp_le_u32_e64 s[2:3], s24, v10
	s_nop 1
	v_cndmask_b32_e64 v10, 0, -1, s[2:3]
	v_cmp_eq_u32_e64 s[2:3], s25, v5
	s_nop 1
	v_cndmask_b32_e64 v5, v11, v10, s[2:3]
	v_lshl_add_u64 v[10:11], v[8:9], 0, 2
	v_cmp_ne_u32_e64 s[2:3], 0, v5
	s_nop 1
	v_cndmask_b32_e64 v5, v13, v11, s[2:3]
	v_cndmask_b32_e64 v11, 0, -1, vcc
	v_cmp_le_u32_e32 vcc, s24, v14
	s_nop 1
	v_cndmask_b32_e64 v13, 0, -1, vcc
	v_cmp_eq_u32_e32 vcc, s25, v1
	s_nop 1
	v_cndmask_b32_e32 v1, v11, v13, vcc
	v_cmp_ne_u32_e32 vcc, 0, v1
	v_cndmask_b32_e64 v1, v12, v10, s[2:3]
	s_nop 0
	v_cndmask_b32_e32 v27, v9, v5, vcc
	v_cndmask_b32_e32 v26, v8, v1, vcc
.LBB0_4:                                ;   in Loop: Header=BB0_2 Depth=1
	s_andn2_saveexec_b64 s[2:3], s[26:27]
	s_cbranch_execz .LBB0_6
; %bb.5:                                ;   in Loop: Header=BB0_2 Depth=1
	v_cvt_f32_u32_e32 v1, s24
	s_sub_i32 s26, 0, s24
	v_mov_b32_e32 v27, v4
	v_rcp_iflag_f32_e32 v1, v1
	s_nop 0
	v_mul_f32_e32 v1, 0x4f7ffffe, v1
	v_cvt_u32_f32_e32 v1, v1
	v_mul_lo_u32 v5, s26, v1
	v_mul_hi_u32 v5, v1, v5
	v_add_u32_e32 v1, v1, v5
	v_mul_hi_u32 v1, v6, v1
	v_mul_lo_u32 v5, v1, s24
	v_sub_u32_e32 v5, v6, v5
	v_add_u32_e32 v8, 1, v1
	v_subrev_u32_e32 v9, s24, v5
	v_cmp_le_u32_e32 vcc, s24, v5
	s_nop 1
	v_cndmask_b32_e32 v5, v5, v9, vcc
	v_cndmask_b32_e32 v1, v1, v8, vcc
	v_add_u32_e32 v8, 1, v1
	v_cmp_le_u32_e32 vcc, s24, v5
	s_nop 1
	v_cndmask_b32_e32 v26, v1, v8, vcc
.LBB0_6:                                ;   in Loop: Header=BB0_2 Depth=1
	s_or_b64 exec, exec, s[2:3]
	v_mad_u64_u32 v[8:9], s[2:3], v26, s24, 0
	s_load_dwordx2 s[2:3], s[18:19], 0x0
	v_mul_lo_u32 v1, v27, s24
	v_mul_lo_u32 v5, v26, s25
	s_load_dwordx2 s[24:25], s[16:17], 0x0
	s_add_u32 s22, s22, 1
	v_add3_u32 v1, v9, v5, v1
	v_sub_co_u32_e32 v5, vcc, v6, v8
	s_addc_u32 s23, s23, 0
	s_nop 0
	v_subb_co_u32_e32 v1, vcc, v7, v1, vcc
	s_add_u32 s16, s16, 8
	s_waitcnt lgkmcnt(0)
	v_mul_lo_u32 v6, s2, v1
	v_mul_lo_u32 v7, s3, v5
	v_mad_u64_u32 v[2:3], s[2:3], s2, v5, v[2:3]
	s_addc_u32 s17, s17, 0
	v_add3_u32 v3, v7, v3, v6
	v_mul_lo_u32 v1, s24, v1
	v_mul_lo_u32 v6, s25, v5
	v_mad_u64_u32 v[24:25], s[2:3], s24, v5, v[24:25]
	s_add_u32 s18, s18, 8
	v_add3_u32 v25, v6, v25, v1
	s_addc_u32 s19, s19, 0
	v_mov_b64_e32 v[6:7], s[10:11]
	s_add_u32 s20, s20, 8
	v_cmp_ge_u64_e32 vcc, s[22:23], v[6:7]
	s_addc_u32 s21, s21, 0
	s_cbranch_vccnz .LBB0_9
; %bb.7:                                ;   in Loop: Header=BB0_2 Depth=1
	v_mov_b64_e32 v[6:7], v[26:27]
	s_branch .LBB0_2
.LBB0_8:
	v_mov_b64_e32 v[24:25], v[2:3]
	v_mov_b64_e32 v[26:27], v[6:7]
.LBB0_9:
	s_load_dwordx2 s[2:3], s[0:1], 0x28
	s_lshl_b64 s[16:17], s[10:11], 3
	s_add_u32 s10, s14, s16
	s_addc_u32 s11, s15, s17
                                        ; implicit-def: $vgpr28
                                        ; implicit-def: $vgpr30_vgpr31
	s_waitcnt lgkmcnt(0)
	v_cmp_gt_u64_e64 s[0:1], s[2:3], v[26:27]
	v_cmp_le_u64_e32 vcc, s[2:3], v[26:27]
	s_and_saveexec_b64 s[2:3], vcc
	s_xor_b64 s[2:3], exec, s[2:3]
; %bb.10:
	s_mov_b32 s14, 0x1681682
	v_mul_hi_u32 v1, v0, s14
	v_mul_u32_u24_e32 v1, 0xb6, v1
	v_sub_u32_e32 v28, v0, v1
	v_mov_b32_e32 v29, 0
	v_mov_b64_e32 v[30:31], v[28:29]
                                        ; implicit-def: $vgpr0
                                        ; implicit-def: $vgpr2_vgpr3
; %bb.11:
	s_or_saveexec_b64 s[2:3], s[2:3]
	s_load_dwordx2 s[10:11], s[10:11], 0x0
	s_xor_b64 exec, exec, s[2:3]
	s_cbranch_execz .LBB0_15
; %bb.12:
	s_add_u32 s12, s12, s16
	s_addc_u32 s13, s13, s17
	s_load_dwordx2 s[12:13], s[12:13], 0x0
	s_mov_b32 s14, 0x1681682
	v_mov_b32_e32 v29, 0
	s_waitcnt lgkmcnt(0)
	v_mul_lo_u32 v1, s13, v26
	v_mul_lo_u32 v6, s12, v27
	v_mad_u64_u32 v[4:5], s[12:13], s12, v26, 0
	v_add3_u32 v5, v5, v6, v1
	v_mul_hi_u32 v1, v0, s14
	v_mul_u32_u24_e32 v1, 0xb6, v1
	v_sub_u32_e32 v28, v0, v1
	v_lshl_add_u64 v[0:1], v[4:5], 3, s[4:5]
	v_lshl_add_u64 v[0:1], v[2:3], 3, v[0:1]
	v_lshlrev_b32_e32 v2, 3, v28
	v_mov_b32_e32 v3, v29
	v_lshl_add_u64 v[4:5], v[0:1], 0, v[2:3]
	s_movk_i32 s4, 0x1000
	v_add_co_u32_e32 v6, vcc, s4, v4
	s_movk_i32 s4, 0x2000
	s_nop 0
	v_addc_co_u32_e32 v7, vcc, 0, v5, vcc
	v_add_co_u32_e32 v16, vcc, s4, v4
	global_load_dwordx2 v[8:9], v[4:5], off
	global_load_dwordx2 v[10:11], v[4:5], off offset:1456
	global_load_dwordx2 v[12:13], v[4:5], off offset:2912
	;; [unrolled: 1-line block ×3, first 2 shown]
	v_addc_co_u32_e32 v17, vcc, 0, v5, vcc
	v_add_co_u32_e32 v4, vcc, 0x3000, v4
	global_load_dwordx2 v[18:19], v[6:7], off offset:1728
	global_load_dwordx2 v[20:21], v[6:7], off offset:3184
	global_load_dwordx2 v[22:23], v[16:17], off offset:544
	global_load_dwordx2 v[30:31], v[16:17], off offset:2000
	v_addc_co_u32_e32 v5, vcc, 0, v5, vcc
	global_load_dwordx2 v[6:7], v[16:17], off offset:3456
	global_load_dwordx2 v[32:33], v[4:5], off offset:816
	s_movk_i32 s4, 0xb5
	v_add_u32_e32 v2, 0, v2
	v_cmp_eq_u32_e32 vcc, s4, v28
	v_add_u32_e32 v3, 0xa00, v2
	v_add_u32_e32 v4, 0x1600, v2
	;; [unrolled: 1-line block ×4, first 2 shown]
	s_waitcnt vmcnt(8)
	ds_write2_b64 v2, v[8:9], v[10:11] offset1:182
	s_waitcnt vmcnt(6)
	ds_write2_b64 v3, v[12:13], v[14:15] offset0:44 offset1:226
	s_waitcnt vmcnt(4)
	ds_write2_b64 v4, v[18:19], v[20:21] offset0:24 offset1:206
	s_waitcnt vmcnt(2)
	ds_write2_b64 v5, v[22:23], v[30:31] offset0:68 offset1:250
	s_waitcnt vmcnt(0)
	ds_write2_b64 v16, v[6:7], v[32:33] offset0:48 offset1:230
	v_mov_b64_e32 v[30:31], v[28:29]
	s_and_saveexec_b64 s[4:5], vcc
	s_cbranch_execz .LBB0_14
; %bb.13:
	v_add_co_u32_e32 v0, vcc, 0x3000, v0
	v_mov_b32_e32 v28, 0xb5
	s_nop 0
	v_addc_co_u32_e32 v1, vcc, 0, v1, vcc
	global_load_dwordx2 v[0:1], v[0:1], off offset:2272
	v_mov_b64_e32 v[30:31], 0xb5
	s_waitcnt vmcnt(0)
	ds_write_b64 v29, v[0:1] offset:14560
.LBB0_14:
	s_or_b64 exec, exec, s[4:5]
.LBB0_15:
	s_or_b64 exec, exec, s[2:3]
	v_lshlrev_b32_e32 v0, 3, v28
	v_add_u32_e32 v35, 0, v0
	s_waitcnt lgkmcnt(0)
	s_barrier
	v_sub_u32_e32 v2, 0, v0
	ds_read_b32 v1, v35
	ds_read_b32 v3, v2 offset:14560
	s_add_u32 s2, s8, 0x3890
	s_addc_u32 s3, s9, 0
	v_cmp_ne_u32_e32 vcc, 0, v28
	s_waitcnt lgkmcnt(0)
	v_add_f32_e32 v0, v3, v1
	v_sub_f32_e32 v1, v1, v3
	s_and_saveexec_b64 s[4:5], vcc
	s_xor_b64 s[4:5], exec, s[4:5]
	s_cbranch_execz .LBB0_17
; %bb.16:
	v_lshl_add_u64 v[4:5], v[30:31], 3, s[2:3]
	global_load_dwordx2 v[4:5], v[4:5], off
	ds_read_b32 v3, v2 offset:14564
	ds_read_b32 v9, v35 offset:4
	v_mov_b32_e32 v6, v1
	v_mov_b32_e32 v8, v0
	;; [unrolled: 1-line block ×3, first 2 shown]
	s_waitcnt lgkmcnt(0)
	v_add_f32_e32 v7, v3, v9
	v_sub_f32_e32 v9, v9, v3
	v_mov_b32_e32 v10, v7
	s_waitcnt vmcnt(0)
	v_pk_mul_f32 v[12:13], v[6:7], v[4:5] op_sel:[0,1]
	v_pk_fma_f32 v[6:7], v[6:7], v[4:5], v[8:9] op_sel:[0,1,0]
	v_mov_b32_e32 v1, v13
	v_mov_b32_e32 v13, v9
	v_pk_fma_f32 v[14:15], v[4:5], v[10:11], v[6:7] neg_lo:[1,0,0] neg_hi:[1,0,0]
	v_pk_fma_f32 v[6:7], v[4:5], v[10:11], v[6:7] op_sel_hi:[0,1,1]
	v_pk_add_f32 v[0:1], v[0:1], v[12:13] neg_lo:[0,1] neg_hi:[0,1]
	v_mov_b32_e32 v15, v7
	v_pk_fma_f32 v[0:1], v[4:5], v[10:11], v[0:1] op_sel_hi:[0,1,1]
	ds_write_b64 v2, v[0:1] offset:14560
	v_mov_b64_e32 v[0:1], v[14:15]
.LBB0_17:
	s_andn2_saveexec_b64 s[4:5], s[4:5]
	s_cbranch_execz .LBB0_19
; %bb.18:
	v_mov_b32_e32 v3, 0
	ds_read_b64 v[4:5], v3 offset:7280
	s_mov_b32 s12, 2.0
	s_mov_b32 s13, -2.0
	s_waitcnt lgkmcnt(0)
	v_pk_mul_f32 v[4:5], v[4:5], s[12:13]
	ds_write_b64 v3, v[4:5] offset:7280
.LBB0_19:
	s_or_b64 exec, exec, s[4:5]
	v_mov_b32_e32 v29, 0
	v_lshl_add_u64 v[4:5], v[28:29], 3, s[2:3]
	global_load_dwordx2 v[6:7], v[4:5], off offset:1456
	global_load_dwordx2 v[8:9], v[4:5], off offset:2912
	s_movk_i32 s2, 0x1000
	v_add_co_u32_e32 v4, vcc, s2, v4
	v_add_u32_e32 v3, 0xa00, v35
	s_nop 0
	v_addc_co_u32_e32 v5, vcc, 0, v5, vcc
	global_load_dwordx2 v[10:11], v[4:5], off offset:272
	global_load_dwordx2 v[12:13], v[4:5], off offset:1728
	ds_write_b64 v35, v[0:1]
	ds_read_b64 v[0:1], v2 offset:13104
	ds_read_b64 v[4:5], v35 offset:1456
	v_add_u32_e32 v32, 0x2000, v35
	s_mov_b32 s2, 0x3f737871
	s_mov_b32 s3, 0x3f167918
	;; [unrolled: 1-line block ×3, first 2 shown]
	s_waitcnt lgkmcnt(0)
	v_pk_add_f32 v[14:15], v[4:5], v[0:1]
	v_pk_add_f32 v[0:1], v[4:5], v[0:1] neg_lo:[0,1] neg_hi:[0,1]
	v_mov_b32_e32 v4, v15
	v_mov_b32_e32 v5, v0
	;; [unrolled: 1-line block ×3, first 2 shown]
	s_mov_b32 s4, 0x3e9e377a
	s_mov_b32 s16, s2
	;; [unrolled: 1-line block ×6, first 2 shown]
                                        ; implicit-def: $vgpr34
	s_waitcnt vmcnt(3)
	v_pk_mul_f32 v[16:17], v[4:5], v[6:7] op_sel:[0,1]
	s_nop 0
	v_pk_add_f32 v[18:19], v[14:15], v[16:17] op_sel:[0,1] op_sel_hi:[1,0]
	v_mov_b32_e32 v15, v16
	v_mov_b32_e32 v0, v17
	v_pk_fma_f32 v[16:17], v[6:7], v[4:5], v[18:19] neg_lo:[1,0,0] neg_hi:[1,0,0]
	v_pk_fma_f32 v[18:19], v[6:7], v[4:5], v[18:19] op_sel_hi:[0,1,1]
	v_pk_add_f32 v[0:1], v[14:15], v[0:1] neg_lo:[0,1] neg_hi:[0,1]
	v_mov_b32_e32 v17, v19
	v_pk_fma_f32 v[0:1], v[6:7], v[4:5], v[0:1] op_sel_hi:[0,1,1]
	ds_write_b64 v35, v[16:17] offset:1456
	ds_write_b64 v2, v[0:1] offset:13104
	ds_read_b64 v[0:1], v2 offset:11648
	ds_read_b64 v[4:5], v35 offset:2912
	s_waitcnt lgkmcnt(0)
	v_pk_add_f32 v[6:7], v[4:5], v[0:1]
	v_pk_add_f32 v[0:1], v[4:5], v[0:1] neg_lo:[0,1] neg_hi:[0,1]
	v_mov_b32_e32 v4, v7
	v_mov_b32_e32 v5, v0
	;; [unrolled: 1-line block ×3, first 2 shown]
	s_waitcnt vmcnt(2)
	v_pk_mul_f32 v[14:15], v[4:5], v[8:9] op_sel:[0,1]
	s_nop 0
	v_pk_add_f32 v[16:17], v[6:7], v[14:15] op_sel:[0,1] op_sel_hi:[1,0]
	v_mov_b32_e32 v7, v14
	v_mov_b32_e32 v0, v15
	v_pk_fma_f32 v[14:15], v[8:9], v[4:5], v[16:17] neg_lo:[1,0,0] neg_hi:[1,0,0]
	v_pk_fma_f32 v[16:17], v[8:9], v[4:5], v[16:17] op_sel_hi:[0,1,1]
	v_pk_add_f32 v[0:1], v[6:7], v[0:1] neg_lo:[0,1] neg_hi:[0,1]
	v_mov_b32_e32 v15, v17
	v_pk_fma_f32 v[0:1], v[8:9], v[4:5], v[0:1] op_sel_hi:[0,1,1]
	ds_write_b64 v35, v[14:15] offset:2912
	ds_write_b64 v2, v[0:1] offset:11648
	ds_read_b64 v[0:1], v2 offset:10192
	ds_read_b64 v[4:5], v35 offset:4368
	v_add_u32_e32 v16, 0x1600, v35
	s_waitcnt lgkmcnt(0)
	v_pk_add_f32 v[6:7], v[4:5], v[0:1]
	v_pk_add_f32 v[0:1], v[4:5], v[0:1] neg_lo:[0,1] neg_hi:[0,1]
	v_mov_b32_e32 v4, v7
	v_mov_b32_e32 v5, v0
	;; [unrolled: 1-line block ×3, first 2 shown]
	s_waitcnt vmcnt(1)
	v_pk_mul_f32 v[8:9], v[4:5], v[10:11] op_sel:[0,1]
	s_nop 0
	v_pk_add_f32 v[14:15], v[6:7], v[8:9] op_sel:[0,1] op_sel_hi:[1,0]
	v_mov_b32_e32 v7, v8
	v_mov_b32_e32 v0, v9
	v_pk_fma_f32 v[8:9], v[10:11], v[4:5], v[14:15] neg_lo:[1,0,0] neg_hi:[1,0,0]
	v_pk_fma_f32 v[14:15], v[10:11], v[4:5], v[14:15] op_sel_hi:[0,1,1]
	v_pk_add_f32 v[0:1], v[6:7], v[0:1] neg_lo:[0,1] neg_hi:[0,1]
	v_mov_b32_e32 v9, v15
	v_pk_fma_f32 v[0:1], v[10:11], v[4:5], v[0:1] op_sel_hi:[0,1,1]
	ds_write_b64 v35, v[8:9] offset:4368
	ds_write_b64 v2, v[0:1] offset:10192
	ds_read_b64 v[0:1], v2 offset:8736
	ds_read_b64 v[4:5], v35 offset:5824
	v_add_u32_e32 v14, 0x2c00, v35
	s_waitcnt lgkmcnt(0)
	v_pk_add_f32 v[6:7], v[4:5], v[0:1]
	v_pk_add_f32 v[0:1], v[4:5], v[0:1] neg_lo:[0,1] neg_hi:[0,1]
	v_mov_b32_e32 v4, v7
	v_mov_b32_e32 v5, v0
	;; [unrolled: 1-line block ×3, first 2 shown]
	s_waitcnt vmcnt(0)
	v_pk_mul_f32 v[8:9], v[4:5], v[12:13] op_sel:[0,1]
	s_nop 0
	v_pk_add_f32 v[10:11], v[6:7], v[8:9] op_sel:[0,1] op_sel_hi:[1,0]
	v_mov_b32_e32 v7, v8
	v_mov_b32_e32 v0, v9
	v_pk_fma_f32 v[8:9], v[12:13], v[4:5], v[10:11] neg_lo:[1,0,0] neg_hi:[1,0,0]
	v_pk_fma_f32 v[10:11], v[12:13], v[4:5], v[10:11] op_sel_hi:[0,1,1]
	v_pk_add_f32 v[0:1], v[6:7], v[0:1] neg_lo:[0,1] neg_hi:[0,1]
	v_mov_b32_e32 v9, v11
	v_pk_fma_f32 v[0:1], v[12:13], v[4:5], v[0:1] op_sel_hi:[0,1,1]
	ds_write_b64 v35, v[8:9] offset:5824
	ds_write_b64 v2, v[0:1] offset:8736
	s_waitcnt lgkmcnt(0)
	s_barrier
	s_barrier
	ds_read2_b64 v[2:5], v3 offset0:44 offset1:226
	ds_read2_b64 v[6:9], v16 offset0:24 offset1:206
	;; [unrolled: 1-line block ×4, first 2 shown]
	ds_read2_b64 v[18:21], v35 offset1:182
	s_waitcnt lgkmcnt(4)
	v_mov_b32_e32 v38, v4
	s_waitcnt lgkmcnt(3)
	v_mov_b32_e32 v40, v8
	s_waitcnt lgkmcnt(2)
	v_pk_add_f32 v[36:37], v[8:9], v[12:13] neg_lo:[0,1] neg_hi:[0,1]
	s_waitcnt lgkmcnt(1)
	v_pk_add_f32 v[22:23], v[4:5], v[16:17] neg_lo:[0,1] neg_hi:[0,1]
	v_mov_b32_e32 v39, v16
	v_mov_b32_e32 v41, v12
	v_pk_add_f32 v[44:45], v[8:9], v[4:5] neg_lo:[0,1] neg_hi:[0,1]
	v_pk_add_f32 v[46:47], v[12:13], v[16:17] neg_lo:[0,1] neg_hi:[0,1]
	v_mov_b32_e32 v50, v23
	v_mov_b32_e32 v51, v37
	v_pk_add_f32 v[0:1], v[8:9], v[12:13]
	v_pk_add_f32 v[38:39], v[38:39], v[40:41] neg_lo:[0,1] neg_hi:[0,1]
	v_pk_add_f32 v[44:45], v[44:45], v[46:47]
	v_pk_mul_f32 v[46:47], v[50:51], s[2:3]
	s_waitcnt lgkmcnt(0)
	v_fma_f32 v49, -0.5, v0, v20
	v_mov_b32_e32 v48, v38
	v_mov_b32_e32 v38, v39
	;; [unrolled: 1-line block ×3, first 2 shown]
	v_pk_add_f32 v[38:39], v[48:49], v[38:39]
	v_sub_f32_e32 v0, v49, v46
	v_pk_fma_f32 v[50:51], v[50:51], s[2:3], v[38:39]
	v_pk_mul_f32 v[52:53], v[22:23], s[12:13] op_sel_hi:[1,0]
	v_sub_f32_e32 v23, v0, v47
	v_mov_b32_e32 v0, v51
	v_pk_add_f32 v[50:51], v[20:21], v[4:5]
	v_mov_b32_e32 v46, 0x3e9e377a
	v_pk_add_f32 v[50:51], v[50:51], v[8:9]
	v_pk_add_f32 v[42:43], v[4:5], v[16:17]
	v_pk_mul_f32 v[48:49], v[46:47], v[38:39]
	v_pk_fma_f32 v[38:39], v[46:47], v[38:39], v[0:1]
	v_pk_add_f32 v[50:51], v[50:51], v[12:13]
	v_fma_f32 v8, -0.5, v1, v21
	v_mov_b32_e32 v0, v5
	v_mov_b32_e32 v1, v17
	;; [unrolled: 1-line block ×3, first 2 shown]
	v_pk_fma_f32 v[40:41], v[42:43], 0.5, v[20:21] op_sel_hi:[1,0,1] neg_lo:[1,0,0] neg_hi:[1,0,0]
	v_pk_mul_f32 v[42:43], v[36:37], s[2:3] op_sel_hi:[1,0]
	v_pk_add_f32 v[0:1], v[0:1], v[12:13] neg_lo:[0,1] neg_hi:[0,1]
	v_pk_add_f32 v[54:55], v[40:41], v[42:43] op_sel:[0,1] op_sel_hi:[1,0] neg_lo:[0,1] neg_hi:[0,1]
	v_mov_b32_e32 v4, v1
	v_pk_add_f32 v[54:55], v[52:53], v[54:55] op_sel:[1,0] op_sel_hi:[0,1]
	v_pk_add_f32 v[0:1], v[0:1], v[4:5]
	v_pk_fma_f32 v[46:47], v[44:45], s[4:5], v[54:55] op_sel_hi:[1,0,1]
	v_mov_b32_e32 v1, v36
	s_mov_b32 s5, s3
	v_fmamk_f32 v20, v22, 0x3f737871, v8
	v_pk_mul_f32 v[0:1], v[0:1], s[4:5]
	v_fmac_f32_e32 v8, 0xbf737871, v22
	v_add_f32_e32 v4, v1, v20
	v_sub_f32_e32 v1, v8, v1
	v_add_f32_e32 v9, v0, v4
	v_add_f32_e32 v8, v0, v1
	v_pk_add_f32 v[0:1], v[40:41], v[42:43] op_sel:[0,1] op_sel_hi:[1,0]
	v_pk_add_f32 v[40:41], v[6:7], v[10:11] neg_lo:[0,1] neg_hi:[0,1]
	v_pk_add_f32 v[0:1], v[0:1], v[52:53] op_sel:[0,1] op_sel_hi:[1,0] neg_lo:[0,1] neg_hi:[0,1]
	v_pk_add_f32 v[42:43], v[2:3], v[14:15]
	v_mov_b32_e32 v54, v0
	v_pk_fma_f32 v[4:5], v[44:45], s[4:5], v[54:55] op_sel_hi:[1,0,1]
	v_pk_fma_f32 v[0:1], v[44:45], s[4:5], v[0:1] op_sel_hi:[1,0,1]
	v_pk_add_f32 v[12:13], v[2:3], v[14:15] neg_lo:[0,1] neg_hi:[0,1]
	v_pk_fma_f32 v[42:43], v[42:43], 0.5, v[18:19] op_sel_hi:[1,0,1] neg_lo:[1,0,0] neg_hi:[1,0,0]
	v_pk_mul_f32 v[44:45], v[40:41], s[2:3] op_sel_hi:[1,0]
	v_pk_add_f32 v[52:53], v[6:7], v[2:3] neg_lo:[0,1] neg_hi:[0,1]
	v_pk_add_f32 v[54:55], v[10:11], v[14:15] neg_lo:[0,1] neg_hi:[0,1]
	v_mul_f32_e32 v36, 0xbf737871, v5
	v_pk_add_f32 v[16:17], v[50:51], v[16:17]
	v_pk_add_f32 v[50:51], v[44:45], v[42:43] op_sel:[1,0] op_sel_hi:[0,1]
	v_pk_add_f32 v[52:53], v[52:53], v[54:55]
	v_pk_mul_f32 v[54:55], v[12:13], s[12:13] op_sel_hi:[1,0]
	v_pk_add_f32 v[42:43], v[42:43], v[44:45] op_sel:[0,1] op_sel_hi:[1,0] neg_lo:[0,1] neg_hi:[0,1]
	v_fmac_f32_e32 v36, 0x3e9e377a, v4
	v_pk_mul_f32 v[4:5], v[4:5], s[16:17]
	v_pk_mul_f32 v[44:45], v[52:53], s[4:5] op_sel_hi:[1,0]
	v_pk_add_f32 v[42:43], v[54:55], v[42:43] op_sel:[1,0] op_sel_hi:[0,1]
	v_mov_b32_e32 v44, v45
	v_mov_b32_e32 v45, v4
	;; [unrolled: 1-line block ×3, first 2 shown]
	v_pk_add_f32 v[44:45], v[44:45], v[4:5]
	v_pk_add_f32 v[4:5], v[18:19], v[2:3]
	v_pk_add_f32 v[50:51], v[50:51], v[54:55] op_sel:[0,1] op_sel_hi:[1,0] neg_lo:[0,1] neg_hi:[0,1]
	v_pk_add_f32 v[4:5], v[4:5], v[6:7]
	v_pk_fma_f32 v[54:55], v[52:53], s[4:5], v[50:51] op_sel_hi:[1,0,1]
	v_pk_add_f32 v[4:5], v[4:5], v[10:11]
	v_mov_b32_e32 v43, v51
	v_pk_add_f32 v[50:51], v[4:5], v[14:15]
	v_pk_add_f32 v[4:5], v[6:7], v[10:11]
	v_pk_mul_f32 v[0:1], v[0:1], s[16:17] op_sel:[1,0]
	v_pk_fma_f32 v[18:19], v[4:5], 0.5, v[18:19] op_sel_hi:[1,0,1] neg_lo:[1,0,0] neg_hi:[1,0,0]
	s_mov_b32 s16, 0xbf4f1bbd
	v_pk_mul_f32 v[12:13], v[12:13], s[2:3] op_sel_hi:[1,0]
	v_pk_add_f32 v[2:3], v[2:3], v[6:7] neg_lo:[0,1] neg_hi:[0,1]
	v_pk_add_f32 v[10:11], v[14:15], v[10:11] neg_lo:[0,1] neg_hi:[0,1]
	v_mul_f32_e32 v20, 0xbf167918, v9
	v_mul_f32_e32 v9, 0x3f4f1bbd, v9
	s_mov_b32 s15, s16
	v_pk_mul_f32 v[6:7], v[40:41], s[12:13] op_sel_hi:[1,0]
	v_pk_add_f32 v[2:3], v[2:3], v[10:11]
	v_mov_b32_e32 v14, v19
	v_mov_b32_e32 v15, v48
	;; [unrolled: 1-line block ×3, first 2 shown]
	v_pk_fma_f32 v[42:43], v[52:53], s[4:5], v[42:43] op_sel_hi:[1,0,1]
	s_mov_b32 s17, s3
	v_pk_mul_f32 v[52:53], v[8:9], s[14:15] op_sel_hi:[0,1]
	v_pk_mul_f32 v[10:11], v[2:3], s[4:5] op_sel_hi:[1,0]
	v_pk_add_f32 v[14:15], v[14:15], v[22:23]
	v_mov_b32_e32 v23, 0x3f167918
	v_mov_b32_e32 v22, v6
	v_pk_fma_f32 v[38:39], v[38:39], s[16:17], v[52:53] op_sel_hi:[0,1,1]
	v_pk_add_f32 v[52:53], v[18:19], v[12:13] op_sel:[0,1] op_sel_hi:[1,0] neg_lo:[0,1] neg_hi:[0,1]
	v_fmac_f32_e32 v20, 0x3f4f1bbd, v15
	v_pk_fma_f32 v[40:41], v[40:41], s[12:13], v[14:15] op_sel_hi:[1,0,1]
	v_pk_mul_f32 v[14:15], v[22:23], v[14:15]
	v_mov_b32_e32 v8, v11
	v_pk_add_f32 v[10:11], v[18:19], v[12:13] op_sel:[0,1] op_sel_hi:[1,0]
	v_pk_add_f32 v[52:53], v[52:53], v[6:7] op_sel:[0,1] op_sel_hi:[1,0] neg_lo:[0,1] neg_hi:[0,1]
	v_mov_b32_e32 v41, v15
	v_pk_add_f32 v[6:7], v[10:11], v[6:7] op_sel:[0,1] op_sel_hi:[1,0]
	s_movk_i32 s2, 0x48
	v_pk_fma_f32 v[56:57], v[2:3], s[4:5], v[52:53] op_sel_hi:[1,0,1]
	v_pk_add_f32 v[8:9], v[8:9], v[40:41]
	v_mov_b32_e32 v7, v53
	v_mad_u32_u24 v22, v28, s2, v35
	s_movk_i32 s2, 0x8b
	v_pk_fma_f32 v[46:47], v[46:47], s[18:19], v[0:1] op_sel_hi:[0,1,1] neg_lo:[0,0,1] neg_hi:[0,0,1]
	v_pk_fma_f32 v[12:13], v[2:3], s[4:5], v[6:7] op_sel_hi:[1,0,1]
	v_mov_b32_e32 v57, v8
	v_mov_b32_e32 v21, v9
	;; [unrolled: 1-line block ×4, first 2 shown]
	v_cmp_lt_u32_e32 vcc, s2, v28
	s_movk_i32 s2, 0x8c
	v_pk_add_f32 v[0:1], v[50:51], v[16:17]
	v_pk_add_f32 v[4:5], v[42:43], v[46:47] neg_lo:[0,1] neg_hi:[0,1]
	v_pk_add_f32 v[6:7], v[12:13], v[38:39] neg_lo:[0,1] neg_hi:[0,1]
	v_pk_add_f32 v[2:3], v[56:57], v[20:21]
	v_pk_add_f32 v[8:9], v[54:55], v[36:37]
	;; [unrolled: 1-line block ×4, first 2 shown]
	v_pk_add_f32 v[14:15], v[50:51], v[16:17] neg_lo:[0,1] neg_hi:[0,1]
	v_pk_add_f32 v[16:17], v[56:57], v[20:21] neg_lo:[0,1] neg_hi:[0,1]
	;; [unrolled: 1-line block ×3, first 2 shown]
	v_cmp_gt_u32_e64 s[2:3], s2, v28
	s_barrier
	ds_write2_b64 v22, v[0:1], v[2:3] offset1:1
	ds_write2_b64 v22, v[8:9], v[10:11] offset0:2 offset1:3
	ds_write2_b64 v22, v[12:13], v[14:15] offset0:4 offset1:5
	;; [unrolled: 1-line block ×4, first 2 shown]
	s_waitcnt lgkmcnt(0)
	s_barrier
	s_waitcnt lgkmcnt(0)
                                        ; implicit-def: $vgpr22
                                        ; implicit-def: $vgpr48
                                        ; implicit-def: $vgpr36
                                        ; implicit-def: $vgpr38
	s_and_saveexec_b64 s[4:5], s[2:3]
	s_cbranch_execz .LBB0_21
; %bb.20:
	v_add_u32_e32 v4, 0x800, v35
	ds_read2_b64 v[8:11], v4 offset0:24 offset1:164
	v_add_u32_e32 v4, 0x1000, v35
	ds_read2_b64 v[0:3], v35 offset1:140
	ds_read2_b64 v[12:15], v4 offset0:48 offset1:188
	v_add_u32_e32 v4, 0x1800, v35
	v_add_u32_e32 v5, 0x2a00, v35
	ds_read2_b64 v[20:23], v5 offset0:56 offset1:196
	ds_read_b64 v[48:49], v35 offset:13440
	ds_read2_b64 v[16:19], v4 offset0:72 offset1:212
	ds_read2_b64 v[4:7], v32 offset0:96 offset1:236
	s_waitcnt lgkmcnt(3)
	v_mov_b32_e32 v34, v23
	s_waitcnt lgkmcnt(2)
	v_mov_b32_e32 v36, v49
	v_mov_b32_e32 v38, v21
.LBB0_21:
	s_or_b64 exec, exec, s[4:5]
	s_movk_i32 s2, 0xcd
	v_mul_lo_u16_sdwa v21, v28, s2 dst_sel:DWORD dst_unused:UNUSED_PAD src0_sel:BYTE_0 src1_sel:DWORD
	v_lshrrev_b16_e32 v33, 11, v21
	v_mul_lo_u16_e32 v21, 10, v33
	v_sub_u16_e32 v37, v28, v21
	v_mov_b32_e32 v21, 12
	v_mul_u32_u24_sdwa v21, v37, v21 dst_sel:DWORD dst_unused:UNUSED_PAD src0_sel:BYTE_0 src1_sel:DWORD
	v_lshlrev_b32_e32 v21, 3, v21
	global_load_dwordx4 v[40:43], v21, s[8:9]
	global_load_dwordx4 v[50:53], v21, s[8:9] offset:16
	global_load_dwordx4 v[54:57], v21, s[8:9] offset:32
	;; [unrolled: 1-line block ×5, first 2 shown]
	s_waitcnt lgkmcnt(1)
	v_mov_b32_e32 v66, v17
	v_mov_b32_e32 v76, v19
	;; [unrolled: 1-line block ×4, first 2 shown]
	s_mov_b32 s52, 0x3eedf032
	s_mov_b32 s36, 0xbf788fa5
	s_mov_b32 s53, 0x3f62ad3f
	s_mov_b32 s12, 0x3df6dbef
	s_mov_b32 s17, 0xbf3f9e67
	s_mov_b32 s13, 0x3f116cb1
	s_mov_b32 s3, 0xbf52af12
	s_mov_b32 s2, 0xbf7e222b
	s_mov_b32 s15, 0x3f29c268
	s_mov_b32 s4, s53
	s_mov_b32 s5, s52
	s_mov_b32 s14, s52
	s_mov_b32 s54, 0xbf29c268
	s_mov_b32 s55, s17
	s_mov_b32 s18, s17
	s_mov_b32 s19, s54
	s_mov_b32 s20, 0x3f52af12
	s_mov_b32 s21, s13
	s_mov_b32 s58, s3
	s_mov_b32 s59, s13
	s_mov_b32 s26, s13
	s_mov_b32 s27, s20
	s_mov_b32 s34, s13
	s_mov_b32 s35, s3
	s_mov_b32 s31, 0xbeb58ec6
	s_mov_b32 s50, 0xbe750f2a
	s_mov_b32 s51, s36
	s_mov_b32 s62, s12
	s_mov_b32 s63, s31
	s_mov_b32 s16, s53
	s_mov_b32 s40, s36
	s_mov_b32 s41, s50
	s_mov_b32 s23, 0xbf6f5d39
	s_mov_b32 s24, 0x3e750f2a
	s_mov_b32 s25, s2
	s_mov_b32 s42, 0x3f6f5d39
	s_mov_b32 s43, s31
	s_mov_b32 s37, s12
	s_mov_b32 s29, 0xbeedf032
	s_mov_b32 s45, s42
	s_mov_b32 s46, s17
	s_mov_b32 s47, s13
	s_mov_b32 s28, s23
	s_mov_b32 s22, s54
	s_mov_b32 s56, s23
	s_mov_b32 s57, s31
	s_mov_b32 s48, s53
	s_mov_b32 s49, s12
	s_mov_b32 s44, s31
	s_mov_b32 s38, s15
	s_mov_b32 s39, s17
	s_mov_b32 s60, 0x3f7e222b
	s_mov_b32 s61, s12
	s_mov_b32 s30, s17
	s_waitcnt lgkmcnt(0)
	s_barrier
	s_waitcnt vmcnt(5)
	v_mul_f32_e32 v17, v8, v43
	s_waitcnt vmcnt(4)
	v_mul_f32_e32 v19, v10, v51
	s_waitcnt vmcnt(3)
	v_pk_mul_f32 v[66:67], v[66:67], v[56:57] op_sel_hi:[0,1]
	s_waitcnt vmcnt(2)
	v_pk_mul_f32 v[80:81], v[76:77], v[58:59] op_sel_hi:[0,1]
	v_mul_f32_e32 v32, v3, v41
	v_mul_f32_e32 v15, v2, v41
	;; [unrolled: 1-line block ×3, first 2 shown]
	v_mov_b32_e32 v78, v53
	v_mov_b32_e32 v79, v52
	v_pk_mul_f32 v[12:13], v[12:13], v[52:53] op_sel_hi:[0,1]
	v_pk_mul_f32 v[52:53], v[44:45], v[54:55] op_sel_hi:[0,1]
	v_pk_mul_f32 v[82:83], v[4:5], v[60:61] op_sel:[1,0]
	s_waitcnt vmcnt(1)
	v_pk_mul_f32 v[90:91], v[6:7], v[62:63] op_sel:[1,0]
	s_waitcnt vmcnt(0)
	v_pk_mul_f32 v[94:95], v[34:35], v[72:73] op_sel_hi:[0,1]
	v_pk_fma_f32 v[84:85], v[16:17], v[56:57], v[66:67] op_sel:[0,0,1] op_sel_hi:[0,1,0] neg_lo:[1,0,0] neg_hi:[1,0,0]
	v_pk_fma_f32 v[88:89], v[18:19], v[58:59], v[80:81] op_sel:[0,0,1] op_sel_hi:[0,1,0] neg_lo:[1,0,0] neg_hi:[1,0,0]
	v_mul_f32_e32 v70, v9, v43
	v_pk_mul_f32 v[92:93], v[38:39], v[64:65] op_sel_hi:[0,1]
	v_pk_mul_f32 v[96:97], v[36:37], v[74:75] op_sel_hi:[0,1]
	v_fmac_f32_e32 v32, v2, v40
	v_fma_f32 v44, v3, v40, -v15
	v_fma_f32 v34, v9, v42, -v17
	v_fmac_f32_e32 v68, v10, v50
	v_fma_f32 v36, v11, v50, -v19
	v_pk_fma_f32 v[38:39], v[46:47], v[78:79], v[12:13] op_sel_hi:[0,1,1]
	v_pk_fma_f32 v[40:41], v[46:47], v[78:79], v[12:13] op_sel_hi:[0,1,1] neg_lo:[0,0,1] neg_hi:[0,0,1]
	v_pk_fma_f32 v[76:77], v[14:15], v[54:55], v[52:53] op_sel:[0,0,1] op_sel_hi:[0,1,0] neg_lo:[1,0,0] neg_hi:[1,0,0]
	v_pk_fma_f32 v[46:47], v[16:17], v[56:57], v[66:67] op_sel:[0,0,1] op_sel_hi:[0,1,0]
	v_pk_fma_f32 v[50:51], v[18:19], v[58:59], v[80:81] op_sel:[0,0,1] op_sel_hi:[0,1,0]
	v_pk_fma_f32 v[86:87], v[4:5], v[60:61], v[82:83] op_sel:[0,0,1] op_sel_hi:[0,1,0] neg_lo:[1,0,0] neg_hi:[1,0,0]
	v_pk_fma_f32 v[58:59], v[6:7], v[62:63], v[90:91] op_sel:[0,0,1] op_sel_hi:[0,1,0]
	v_pk_fma_f32 v[80:81], v[6:7], v[62:63], v[90:91] op_sel:[0,0,1] op_sel_hi:[0,1,0] neg_lo:[1,0,0] neg_hi:[1,0,0]
	;; [unrolled: 2-line block ×3, first 2 shown]
	v_pk_add_f32 v[184:185], v[84:85], v[88:89] op_sel:[1,1] neg_lo:[0,1] neg_hi:[0,1]
	v_fmac_f32_e32 v70, v8, v42
	v_pk_fma_f32 v[78:79], v[20:21], v[64:65], v[92:93] op_sel:[0,0,1] op_sel_hi:[0,1,0] neg_lo:[1,0,0] neg_hi:[1,0,0]
	v_pk_add_f32 v[166:167], v[34:35], v[22:23] op_sel:[0,1] neg_lo:[0,1] neg_hi:[0,1]
	v_pk_add_f32 v[2:3], v[34:35], v[22:23] op_sel:[0,1] op_sel_hi:[0,1]
	v_pk_add_f32 v[180:181], v[76:77], v[86:87] op_sel:[1,1] neg_lo:[0,1] neg_hi:[0,1]
	v_pk_add_f32 v[182:183], v[76:77], v[86:87] op_sel:[1,1]
	v_pk_add_f32 v[162:163], v[46:47], v[50:51] op_sel_hi:[0,0]
	v_mul_f32_e32 v76, 0xbe750f2a, v184
	v_pk_fma_f32 v[42:43], v[14:15], v[54:55], v[52:53] op_sel:[0,0,1] op_sel_hi:[0,1,0]
	v_pk_fma_f32 v[52:53], v[4:5], v[60:61], v[82:83] op_sel:[0,0,1] op_sel_hi:[0,1,0]
	;; [unrolled: 1-line block ×3, first 2 shown]
	v_pk_fma_f32 v[92:93], v[48:49], v[74:75], v[96:97] op_sel:[0,0,1] op_sel_hi:[0,1,0] neg_lo:[1,0,0] neg_hi:[1,0,0]
	v_pk_add_f32 v[116:117], v[70:71], v[62:63]
	v_pk_add_f32 v[108:109], v[70:71], v[62:63] neg_lo:[0,1] neg_hi:[0,1]
	v_pk_add_f32 v[170:171], v[36:37], v[78:79] op_sel:[0,1] neg_lo:[0,1] neg_hi:[0,1]
	v_pk_add_f32 v[168:169], v[36:37], v[78:79] op_sel:[0,1] op_sel_hi:[0,1]
	v_mov_b32_e32 v167, v3
	v_fma_f32 v45, v162, s36, -v76
	v_pk_fma_f32 v[64:65], v[48:49], v[74:75], v[96:97] op_sel:[0,0,1] op_sel_hi:[0,1,0]
	v_pk_add_f32 v[118:119], v[68:69], v[60:61]
	v_pk_add_f32 v[114:115], v[68:69], v[60:61] neg_lo:[0,1] neg_hi:[0,1]
	v_mov_b32_e32 v117, v108
	v_mov_b32_e32 v171, v169
	;; [unrolled: 1-line block ×4, first 2 shown]
	v_pk_mul_f32 v[4:5], v[166:167], s[52:53]
	v_pk_add_f32 v[178:179], v[40:41], v[80:81] op_sel:[1,1] neg_lo:[0,1] neg_hi:[0,1]
	v_pk_add_f32 v[172:173], v[40:41], v[80:81] op_sel:[1,1]
	v_pk_add_f32 v[188:189], v[44:45], v[92:93] op_sel:[0,1] op_sel_hi:[0,1]
	v_pk_add_f32 v[192:193], v[44:45], v[92:93] op_sel:[0,1] op_sel_hi:[0,1] neg_lo:[0,1] neg_hi:[0,1]
	v_mov_b32_e32 v119, v114
	v_pk_mul_f32 v[66:67], v[6:7], s[2:3]
	v_pk_mul_f32 v[82:83], v[6:7], s[14:15]
	v_pk_fma_f32 v[8:9], v[116:117], s[4:5], v[4:5] neg_lo:[0,0,1] neg_hi:[0,0,1]
	v_pk_fma_f32 v[6:7], v[116:117], s[4:5], v[4:5]
	v_pk_mul_f32 v[10:11], v[170:171], s[54:55]
	v_pk_add_f32 v[146:147], v[38:39], v[58:59]
	v_pk_add_f32 v[144:145], v[38:39], v[58:59] neg_lo:[0,1] neg_hi:[0,1]
	v_mov_b32_e32 v179, v173
	v_pk_add_f32 v[176:177], v[32:33], v[64:65] op_sel_hi:[0,0] neg_lo:[0,1] neg_hi:[0,1]
	v_pk_add_f32 v[174:175], v[32:33], v[64:65] op_sel_hi:[0,0]
	v_mov_b32_e32 v193, v189
	v_mov_b32_e32 v9, v7
	v_pk_fma_f32 v[48:49], v[118:119], s[18:19], v[10:11] neg_lo:[0,0,1] neg_hi:[0,0,1]
	v_pk_fma_f32 v[12:13], v[118:119], s[18:19], v[10:11]
	v_mov_b32_e32 v147, v144
	v_pk_mul_f32 v[14:15], v[178:179], s[20:21]
	v_mov_b32_e32 v175, v177
	v_mul_f32_e32 v7, 0xbeedf032, v192
	v_pk_mul_f32 v[94:95], v[192:193], s[58:59]
	v_mov_b32_e32 v49, v13
	v_pk_fma_f32 v[120:121], v[146:147], s[26:27], v[14:15] neg_lo:[0,0,1] neg_hi:[0,0,1]
	v_pk_fma_f32 v[16:17], v[146:147], s[26:27], v[14:15]
	v_fma_f32 v13, v174, s53, -v7
	v_pk_fma_f32 v[96:97], v[174:175], s[34:35], v[94:95]
	v_pk_fma_f32 v[72:73], v[174:175], s[34:35], v[94:95] neg_lo:[0,0,1] neg_hi:[0,0,1]
	v_mov_b32_e32 v121, v17
	v_add_f32_e32 v17, v0, v13
	v_mov_b32_e32 v73, v97
	v_mul_f32_e32 v13, 0xbf6f5d39, v192
	v_mov_b32_e32 v160, v118
	v_mov_b32_e32 v161, v116
	v_pk_add_f32 v[104:105], v[0:1], v[72:73]
	v_fma_f32 v22, v174, s31, -v13
	v_pk_mul_f32 v[72:73], v[192:193], s[50:51]
	v_pk_mul_f32 v[204:205], v[172:173], s[62:63] op_sel:[1,0]
	s_mov_b32 s62, s36
	s_mov_b32 s63, s17
	v_pk_fma_f32 v[20:21], v[160:161], s[16:17], v[82:83] neg_lo:[0,0,1] neg_hi:[0,0,1]
	v_pk_add_f32 v[154:155], v[42:43], v[52:53]
	v_mov_b32_e32 v54, v180
	v_mov_b32_e32 v55, v178
	v_add_f32_e32 v22, v0, v22
	v_pk_fma_f32 v[100:101], v[174:175], s[40:41], v[72:73] neg_lo:[0,0,1] neg_hi:[0,0,1]
	v_pk_fma_f32 v[74:75], v[174:175], s[40:41], v[72:73]
	v_pk_mul_f32 v[208:209], v[182:183], s[62:63] op_sel:[1,0]
	s_mov_b32 s62, s31
	s_mov_b32 s63, s53
	v_mov_b32_e32 v190, v154
	v_mov_b32_e32 v191, v146
	v_pk_mul_f32 v[98:99], v[54:55], s[24:25]
	v_mov_b32_e32 v101, v75
	v_add_f32_e32 v21, v21, v22
	v_pk_mul_f32 v[132:133], v[170:171], s[42:43]
	s_mov_b32 s42, s2
	s_mov_b32 s43, s12
	v_pk_mul_f32 v[206:207], v[188:189], s[62:63] op_sel:[1,0]
	v_pk_fma_f32 v[124:125], v[190:191], s[36:37], v[98:99] neg_lo:[0,0,1] neg_hi:[0,0,1]
	v_pk_add_f32 v[106:107], v[0:1], v[100:101]
	v_add_f32_e32 v22, v20, v21
	v_pk_mul_f32 v[156:157], v[192:193], s[42:43]
	s_mov_b32 s42, s12
	s_mov_b32 s43, s2
	v_pk_mul_f32 v[202:203], v[2:3], s[46:47] op_sel:[1,0]
	s_mov_b32 s46, s15
	s_mov_b32 s47, s3
	v_pk_fma_f32 v[188:189], v[176:177], s[28:29], v[206:207] op_sel:[1,0,0]
	v_pk_mul_f32 v[90:91], v[54:55], s[22:23]
	s_mov_b32 s22, s31
	v_pk_mul_f32 v[102:103], v[166:167], s[56:57]
	v_pk_add_f32 v[8:9], v[8:9], v[106:107]
	v_add_f32_e32 v22, v125, v22
	v_pk_mul_f32 v[128:129], v[166:167], s[50:51]
	v_pk_fma_f32 v[158:159], v[174:175], s[42:43], v[156:157]
	v_pk_fma_f32 v[196:197], v[174:175], s[42:43], v[156:157] neg_lo:[0,0,1] neg_hi:[0,0,1]
	v_pk_fma_f32 v[2:3], v[108:109], s[46:47], v[202:203] op_sel_hi:[0,1,1]
	v_pk_mul_f32 v[200:201], v[168:169], s[48:49] op_sel:[1,0]
	s_mov_b32 s48, s52
	s_mov_b32 s49, s2
	v_pk_add_f32 v[188:189], v[0:1], v[188:189] op_sel:[1,0]
	v_pk_fma_f32 v[18:19], v[160:161], s[12:13], v[66:67] neg_lo:[0,0,1] neg_hi:[0,0,1]
	v_pk_fma_f32 v[100:101], v[116:117], s[22:23], v[102:103]
	v_pk_fma_f32 v[110:111], v[116:117], s[22:23], v[102:103] neg_lo:[0,0,1] neg_hi:[0,0,1]
	v_pk_add_f32 v[8:9], v[48:49], v[8:9]
	v_add_f32_e32 v221, v124, v22
	v_pk_fma_f32 v[124:125], v[116:117], s[40:41], v[128:129]
	v_pk_fma_f32 v[48:49], v[116:117], s[40:41], v[128:129] neg_lo:[0,0,1] neg_hi:[0,0,1]
	v_mov_b32_e32 v197, v159
	v_pk_fma_f32 v[168:169], v[114:115], s[48:49], v[200:201] op_sel_hi:[0,1,1]
	s_mov_b32 s3, s23
	v_pk_add_f32 v[2:3], v[2:3], v[188:189]
	v_pk_add_f32 v[150:151], v[42:43], v[52:53] neg_lo:[0,1] neg_hi:[0,1]
	v_mov_b32_e32 v181, v183
	v_pk_add_f32 v[186:187], v[84:85], v[88:89] op_sel:[1,1]
	v_add_f32_e32 v17, v19, v17
	v_mov_b32_e32 v111, v101
	v_pk_mul_f32 v[106:107], v[170:171], s[50:51]
	v_mov_b32_e32 v49, v125
	v_pk_fma_f32 v[134:135], v[118:119], s[44:45], v[132:133]
	v_pk_fma_f32 v[148:149], v[118:119], s[44:45], v[132:133] neg_lo:[0,0,1] neg_hi:[0,0,1]
	v_pk_mul_f32 v[138:139], v[178:179], s[52:53]
	v_pk_add_f32 v[196:197], v[0:1], v[196:197]
	v_pk_fma_f32 v[172:173], v[144:145], s[2:3], v[204:205] op_sel_hi:[0,1,1]
	s_mov_b32 s25, s54
	v_pk_add_f32 v[2:3], v[168:169], v[2:3]
	s_mov_b32 s62, s13
	s_mov_b32 s63, s36
	v_mov_b32_e32 v155, v150
	v_pk_add_f32 v[164:165], v[46:47], v[50:51] op_sel_hi:[0,0] neg_lo:[0,1] neg_hi:[0,1]
	v_pk_add_f32 v[110:111], v[110:111], v[104:105]
	v_add_f32_e32 v17, v18, v17
	v_pk_fma_f32 v[104:105], v[118:119], s[40:41], v[106:107]
	v_pk_fma_f32 v[18:19], v[118:119], s[40:41], v[106:107] neg_lo:[0,0,1] neg_hi:[0,0,1]
	v_mov_b32_e32 v149, v135
	v_pk_fma_f32 v[136:137], v[146:147], s[4:5], v[138:139]
	v_pk_fma_f32 v[152:153], v[146:147], s[4:5], v[138:139] neg_lo:[0,0,1] neg_hi:[0,0,1]
	v_pk_mul_f32 v[142:143], v[180:181], s[58:59]
	v_pk_add_f32 v[48:49], v[48:49], v[196:197]
	v_pk_fma_f32 v[182:183], v[150:151], s[24:25], v[208:209] op_sel_hi:[0,1,1]
	v_pk_add_f32 v[2:3], v[172:173], v[2:3]
	v_pk_mul_f32 v[212:213], v[186:187], s[62:63] op_sel:[1,0]
	s_mov_b32 s21, s50
	v_mov_b32_e32 v19, v105
	v_mov_b32_e32 v153, v137
	v_pk_fma_f32 v[140:141], v[154:155], s[34:35], v[142:143]
	v_pk_fma_f32 v[194:195], v[154:155], s[34:35], v[142:143] neg_lo:[0,0,1] neg_hi:[0,0,1]
	v_pk_add_f32 v[48:49], v[148:149], v[48:49]
	v_pk_add_f32 v[2:3], v[182:183], v[2:3]
	v_pk_fma_f32 v[168:169], v[164:165], s[20:21], v[212:213] op_sel:[1,0,0]
	v_pk_mul_f32 v[198:199], v[192:193], s[54:55]
	v_pk_add_f32 v[18:19], v[18:19], v[110:111]
	v_pk_mul_f32 v[110:111], v[178:179], s[38:39]
	s_mov_b32 s38, s12
	s_mov_b32 s39, s60
	v_mov_b32_e32 v195, v141
	v_pk_add_f32 v[48:49], v[152:153], v[48:49]
	v_pk_add_f32 v[2:3], v[168:169], v[2:3]
	v_pk_mul_f32 v[168:169], v[166:167], s[60:61]
	v_pk_fma_f32 v[192:193], v[174:175], s[18:19], v[198:199] neg_lo:[0,0,1] neg_hi:[0,0,1]
	v_pk_fma_f32 v[196:197], v[174:175], s[18:19], v[198:199]
	s_mov_b32 s14, s17
	v_pk_add_f32 v[48:49], v[194:195], v[48:49]
	v_pk_fma_f32 v[194:195], v[116:117], s[38:39], v[168:169] neg_lo:[0,0,1] neg_hi:[0,0,1]
	v_pk_fma_f32 v[166:167], v[116:117], s[38:39], v[168:169]
	v_pk_mul_f32 v[172:173], v[170:171], s[58:59]
	s_mov_b32 s50, s24
	v_mov_b32_e32 v193, v197
	v_pk_fma_f32 v[122:123], v[190:191], s[30:31], v[90:91] neg_lo:[0,0,1] neg_hi:[0,0,1]
	v_pk_fma_f32 v[112:113], v[146:147], s[14:15], v[110:111]
	v_pk_fma_f32 v[20:21], v[146:147], s[14:15], v[110:111] neg_lo:[0,0,1] neg_hi:[0,0,1]
	v_mov_b32_e32 v195, v167
	v_pk_fma_f32 v[214:215], v[118:119], s[34:35], v[172:173] neg_lo:[0,0,1] neg_hi:[0,0,1]
	v_pk_fma_f32 v[170:171], v[118:119], s[34:35], v[172:173]
	v_pk_mul_f32 v[178:179], v[178:179], s[50:51]
	s_mov_b32 s50, s36
	s_mov_b32 s51, s24
	v_pk_add_f32 v[192:193], v[0:1], v[192:193]
	v_pk_mul_f32 v[54:55], v[180:181], s[56:57]
	v_add_f32_e32 v17, v123, v17
	v_mov_b32_e32 v21, v113
	v_pk_add_f32 v[8:9], v[120:121], v[8:9]
	v_pk_mul_f32 v[120:121], v[180:181], s[60:61]
	v_mov_b32_e32 v215, v171
	v_pk_fma_f32 v[216:217], v[146:147], s[50:51], v[178:179] neg_lo:[0,0,1] neg_hi:[0,0,1]
	v_pk_fma_f32 v[182:183], v[146:147], s[50:51], v[178:179]
	v_pk_mul_f32 v[188:189], v[180:181], s[52:53]
	v_pk_add_f32 v[192:193], v[194:195], v[192:193]
	v_pk_fma_f32 v[126:127], v[154:155], s[22:23], v[54:55] neg_lo:[0,0,1] neg_hi:[0,0,1]
	v_pk_fma_f32 v[56:57], v[154:155], s[22:23], v[54:55]
	v_mov_b32_e32 v185, v187
	v_pk_add_f32 v[18:19], v[20:21], v[18:19]
	v_add_f32_e32 v220, v122, v17
	v_pk_fma_f32 v[122:123], v[154:155], s[38:39], v[120:121]
	v_pk_fma_f32 v[20:21], v[154:155], s[38:39], v[120:121] neg_lo:[0,0,1] neg_hi:[0,0,1]
	v_mov_b32_e32 v217, v183
	v_pk_fma_f32 v[180:181], v[154:155], s[4:5], v[188:189] neg_lo:[0,0,1] neg_hi:[0,0,1]
	v_pk_fma_f32 v[186:187], v[154:155], s[4:5], v[188:189]
	v_pk_add_f32 v[192:193], v[214:215], v[192:193]
	v_mov_b32_e32 v127, v57
	v_mov_b32_e32 v163, v165
	;; [unrolled: 1-line block ×3, first 2 shown]
	v_pk_mul_f32 v[130:131], v[184:185], s[52:53]
	v_pk_mul_f32 v[152:153], v[184:185], s[54:55]
	v_mul_f32_e32 v78, 0x3f52af12, v184
	v_mov_b32_e32 v181, v187
	v_pk_add_f32 v[192:193], v[216:217], v[192:193]
	v_pk_mul_f32 v[194:195], v[184:185], s[56:57]
	v_pk_mul_f32 v[184:185], v[184:185], s[60:61]
	v_pk_add_f32 v[18:19], v[20:21], v[18:19]
	v_pk_add_f32 v[8:9], v[126:127], v[8:9]
	v_pk_fma_f32 v[126:127], v[162:163], s[4:5], v[130:131]
	v_pk_fma_f32 v[20:21], v[162:163], s[4:5], v[130:131] neg_lo:[0,0,1] neg_hi:[0,0,1]
	v_pk_fma_f32 v[148:149], v[162:163], s[18:19], v[152:153]
	v_pk_fma_f32 v[210:211], v[162:163], s[18:19], v[152:153] neg_lo:[0,0,1] neg_hi:[0,0,1]
	v_pk_add_f32 v[214:215], v[180:181], v[192:193]
	v_pk_fma_f32 v[218:219], v[162:163], s[22:23], v[194:195] neg_lo:[0,0,1] neg_hi:[0,0,1]
	v_pk_fma_f32 v[192:193], v[162:163], s[22:23], v[194:195]
	v_pk_fma_f32 v[216:217], v[162:163], s[38:39], v[184:185] neg_lo:[0,0,1] neg_hi:[0,0,1]
	v_pk_fma_f32 v[180:181], v[162:163], s[38:39], v[184:185]
	v_mov_b32_e32 v21, v127
	v_mov_b32_e32 v211, v149
	v_fma_f32 v222, v162, s13, -v78
	v_mov_b32_e32 v219, v193
	v_mov_b32_e32 v217, v181
	s_and_saveexec_b64 s[52:53], vcc
	s_xor_b64 s[52:53], exec, s[52:53]
; %bb.22:
                                        ; implicit-def: $vgpr76_vgpr77
                                        ; implicit-def: $vgpr78_vgpr79
                                        ; implicit-def: $vgpr6_vgpr7
                                        ; implicit-def: $vgpr12_vgpr13
                                        ; implicit-def: $vgpr0_vgpr1
                                        ; implicit-def: $vgpr33
                                        ; implicit-def: $vgpr32
                                        ; implicit-def: $vgpr44
                                        ; implicit-def: $vgpr34
                                        ; implicit-def: $vgpr36
                                        ; implicit-def: $vgpr38_vgpr39
                                        ; implicit-def: $vgpr40_vgpr41
                                        ; implicit-def: $vgpr42_vgpr43
                                        ; implicit-def: $vgpr46_vgpr47
                                        ; implicit-def: $vgpr84_vgpr85
                                        ; implicit-def: $vgpr50_vgpr51
                                        ; implicit-def: $vgpr88_vgpr89
                                        ; implicit-def: $vgpr52_vgpr53
                                        ; implicit-def: $vgpr86_vgpr87
                                        ; implicit-def: $vgpr58_vgpr59
                                        ; implicit-def: $vgpr80_vgpr81
                                        ; implicit-def: $vgpr60_vgpr61
                                        ; implicit-def: $vgpr62_vgpr63
                                        ; implicit-def: $vgpr22_vgpr23
                                        ; implicit-def: $vgpr64_vgpr65
                                        ; implicit-def: $vgpr92_vgpr93
                                        ; implicit-def: $vgpr4_vgpr5
                                        ; implicit-def: $vgpr66_vgpr67
                                        ; implicit-def: $vgpr82_vgpr83
                                        ; implicit-def: $vgpr10_vgpr11
                                        ; implicit-def: $vgpr14_vgpr15
                                        ; implicit-def: $vgpr16_vgpr17
                                        ; implicit-def: $vgpr90_vgpr91
                                        ; implicit-def: $vgpr98_vgpr99
                                        ; implicit-def: $vgpr54_vgpr55
                                        ; implicit-def: $vgpr56_vgpr57
                                        ; implicit-def: $vgpr94_vgpr95
                                        ; implicit-def: $vgpr96_vgpr97
                                        ; implicit-def: $vgpr72_vgpr73
                                        ; implicit-def: $vgpr74_vgpr75
                                        ; implicit-def: $vgpr102_vgpr103
                                        ; implicit-def: $vgpr100_vgpr101
                                        ; implicit-def: $vgpr106_vgpr107
                                        ; implicit-def: $vgpr104_vgpr105
                                        ; implicit-def: $vgpr110_vgpr111
                                        ; implicit-def: $vgpr112_vgpr113
                                        ; implicit-def: $vgpr120_vgpr121
                                        ; implicit-def: $vgpr122_vgpr123
                                        ; implicit-def: $vgpr130_vgpr131
                                        ; implicit-def: $vgpr126_vgpr127
                                        ; implicit-def: $vgpr128_vgpr129
                                        ; implicit-def: $vgpr124_vgpr125
                                        ; implicit-def: $vgpr132_vgpr133
                                        ; implicit-def: $vgpr134_vgpr135
                                        ; implicit-def: $vgpr138_vgpr139
                                        ; implicit-def: $vgpr136_vgpr137
                                        ; implicit-def: $vgpr142_vgpr143
                                        ; implicit-def: $vgpr140_vgpr141
                                        ; implicit-def: $vgpr156_vgpr157
                                        ; implicit-def: $vgpr158_vgpr159
                                        ; implicit-def: $vgpr152_vgpr153
                                        ; implicit-def: $vgpr148_vgpr149
                                        ; implicit-def: $vgpr202_vgpr203
                                        ; implicit-def: $vgpr200_vgpr201
                                        ; implicit-def: $vgpr204_vgpr205
                                        ; implicit-def: $vgpr208_vgpr209
                                        ; implicit-def: $vgpr206_vgpr207
                                        ; implicit-def: $vgpr212_vgpr213
                                        ; implicit-def: $vgpr168_vgpr169
                                        ; implicit-def: $vgpr166_vgpr167
                                        ; implicit-def: $vgpr172_vgpr173
                                        ; implicit-def: $vgpr170_vgpr171
                                        ; implicit-def: $vgpr178_vgpr179
                                        ; implicit-def: $vgpr182_vgpr183
                                        ; implicit-def: $vgpr188_vgpr189
                                        ; implicit-def: $vgpr186_vgpr187
                                        ; implicit-def: $vgpr198_vgpr199
                                        ; implicit-def: $vgpr196_vgpr197
                                        ; implicit-def: $vgpr194_vgpr195
                                        ; implicit-def: $vgpr192_vgpr193
                                        ; implicit-def: $vgpr184_vgpr185
                                        ; implicit-def: $vgpr180_vgpr181
                                        ; implicit-def: $vgpr37
                                        ; implicit-def: $vgpr108_vgpr109
                                        ; implicit-def: $vgpr114_vgpr115
                                        ; implicit-def: $vgpr144_vgpr145
                                        ; implicit-def: $vgpr150_vgpr151
                                        ; implicit-def: $vgpr162_vgpr163
                                        ; implicit-def: $vgpr164_vgpr165
                                        ; implicit-def: $vgpr176_vgpr177
                                        ; implicit-def: $vgpr174_vgpr175
                                        ; implicit-def: $vgpr190_vgpr191
                                        ; implicit-def: $vgpr154_vgpr155
                                        ; implicit-def: $vgpr146_vgpr147
                                        ; implicit-def: $vgpr160_vgpr161
                                        ; implicit-def: $vgpr118_vgpr119
                                        ; implicit-def: $vgpr68_vgpr69
                                        ; implicit-def: $vgpr116_vgpr117
                                        ; implicit-def: $vgpr70_vgpr71
                                        ; implicit-def: $vgpr76
                                        ; implicit-def: $vgpr7
                                        ; implicit-def: $vgpr13
                                        ; implicit-def: $vgpr78
; %bb.23:
	s_or_saveexec_b64 s[52:53], s[52:53]
	v_add_f32_e32 v40, v45, v220
	v_pk_add_f32 v[18:19], v[20:21], v[18:19]
	v_pk_add_f32 v[20:21], v[210:211], v[48:49]
	v_add_f32_e32 v22, v222, v221
	v_pk_add_f32 v[48:49], v[218:219], v[214:215]
	v_pk_add_f32 v[8:9], v[216:217], v[8:9]
	s_xor_b64 exec, exec, s[52:53]
	s_cbranch_execz .LBB0_25
; %bb.24:
	v_mul_f32_e32 v17, 0x3f62ad3f, v174
	v_pk_mul_f32 v[214:215], v[160:161], s[12:13]
	v_pk_mul_f32 v[108:109], v[108:109], s[46:47] op_sel_hi:[0,1]
	v_pk_mul_f32 v[176:177], v[176:177], s[28:29] op_sel:[1,0]
	v_add_f32_e32 v7, v17, v7
	v_mov_b32_e32 v246, v202
	v_mov_b32_e32 v247, v206
	v_mov_b32_e32 v248, v108
	v_mov_b32_e32 v249, v176
	v_add_f32_e32 v7, v0, v7
	v_pk_add_f32 v[66:67], v[214:215], v[66:67]
	v_pk_mul_f32 v[220:221], v[190:191], s[30:31]
	v_mul_f32_e32 v45, 0xbeb58ec6, v174
	v_pk_add_f32 v[246:247], v[246:247], v[248:249] neg_lo:[0,1] neg_hi:[0,1]
	v_add_f32_e32 v7, v67, v7
	v_pk_mul_f32 v[160:161], v[160:161], s[16:17]
	v_pk_mul_f32 v[114:115], v[114:115], s[48:49] op_sel_hi:[0,1]
	v_pk_mul_f32 v[144:145], v[144:145], s[2:3] op_sel_hi:[0,1]
	v_pk_add_f32 v[248:249], v[0:1], v[246:247]
	v_add_f32_e32 v13, v45, v13
	v_add_f32_e32 v7, v66, v7
	v_pk_add_f32 v[66:67], v[220:221], v[90:91]
	v_mov_b32_e32 v108, v249
	v_mov_b32_e32 v248, v204
	;; [unrolled: 1-line block ×5, first 2 shown]
	v_add_f32_e32 v13, v0, v13
	v_pk_add_f32 v[82:83], v[160:161], v[82:83]
	v_add_f32_e32 v7, v67, v7
	v_add_f32_e32 v45, v1, v44
	;; [unrolled: 1-line block ×3, first 2 shown]
	v_mov_b32_e32 v71, v34
	v_pk_mul_f32 v[190:191], v[190:191], s[36:37]
	v_pk_add_f32 v[248:249], v[248:249], v[250:251] neg_lo:[0,1] neg_hi:[0,1]
	v_add_f32_e32 v13, v83, v13
	v_mov_b32_e32 v206, v203
	v_mov_b32_e32 v176, v109
	v_add_f32_e32 v66, v66, v7
	v_mul_u32_u24_e32 v7, 0x410, v33
	v_pk_add_f32 v[32:33], v[44:45], v[70:71]
	v_mov_b32_e32 v69, v36
	v_mov_b32_e32 v39, v41
	v_pk_add_f32 v[246:247], v[246:247], v[108:109]
	v_mov_b32_e32 v108, v249
	v_add_f32_e32 v13, v82, v13
	v_pk_add_f32 v[82:83], v[190:191], v[98:99]
	v_pk_add_f32 v[98:99], v[206:207], v[176:177] neg_lo:[0,1] neg_hi:[0,1]
	v_pk_add_f32 v[32:33], v[32:33], v[68:69]
	v_mov_b32_e32 v43, v77
	v_pk_add_f32 v[246:247], v[108:109], v[246:247]
	v_pk_add_f32 v[108:109], v[0:1], v[98:99]
	;; [unrolled: 1-line block ×3, first 2 shown]
	v_mov_b32_e32 v47, v85
	v_mov_b32_e32 v108, v109
	;; [unrolled: 1-line block ×4, first 2 shown]
	v_pk_add_f32 v[32:33], v[32:33], v[42:43]
	v_mov_b32_e32 v51, v89
	v_pk_add_f32 v[98:99], v[98:99], v[108:109]
	v_pk_add_f32 v[108:109], v[200:201], v[114:115] neg_lo:[0,1] neg_hi:[0,1]
	v_pk_add_f32 v[32:33], v[32:33], v[46:47]
	v_mov_b32_e32 v53, v87
	v_mov_b32_e32 v114, v109
	v_pk_add_f32 v[32:33], v[32:33], v[50:51]
	v_pk_mul_f32 v[150:151], v[150:151], s[24:25] op_sel_hi:[0,1]
	v_mov_b32_e32 v59, v81
	v_pk_add_f32 v[98:99], v[114:115], v[98:99]
	v_pk_add_f32 v[32:33], v[32:33], v[52:53]
	v_pk_mul_f32 v[164:165], v[164:165], s[20:21] op_sel:[1,0]
	v_mov_b32_e32 v61, v79
	v_pk_add_f32 v[150:151], v[208:209], v[150:151] neg_lo:[0,1] neg_hi:[0,1]
	v_add_f32_e32 v13, v83, v13
	v_pk_add_f32 v[98:99], v[108:109], v[98:99]
	v_pk_add_f32 v[32:33], v[32:33], v[58:59]
	v_mul_f32_e32 v80, 0xbf788fa5, v162
	v_mov_b32_e32 v63, v23
	v_pk_add_f32 v[164:165], v[212:213], v[164:165] neg_lo:[0,1] neg_hi:[0,1]
	v_add_f32_e32 v82, v82, v13
	v_mov_b32_e32 v13, 3
	v_pk_add_f32 v[32:33], v[32:33], v[60:61]
	v_mov_b32_e32 v81, v151
	v_mov_b32_e32 v77, v98
	v_mov_b32_e32 v65, v93
	v_lshlrev_b32_sdwa v13, v13, v37 dst_sel:DWORD dst_unused:UNUSED_PAD src0_sel:DWORD src1_sel:BYTE_0
	v_pk_add_f32 v[32:33], v[32:33], v[62:63]
	v_pk_add_f32 v[36:37], v[80:81], v[76:77]
	v_mov_b32_e32 v67, v165
	v_pk_mul_f32 v[228:229], v[116:117], s[22:23]
	v_add3_u32 v90, 0, v7, v13
	v_pk_add_f32 v[32:33], v[32:33], v[64:65]
	v_pk_add_f32 v[36:37], v[36:37], v[66:67]
	v_pk_mul_f32 v[230:231], v[118:119], s[40:41]
	ds_write2_b64 v90, v[32:33], v[36:37] offset1:10
	v_pk_add_f32 v[36:37], v[102:103], v[228:229] neg_lo:[0,1] neg_hi:[0,1]
	v_pk_mul_f32 v[232:233], v[146:147], s[14:15]
	v_mov_b32_e32 v101, v37
	v_pk_add_f32 v[36:37], v[106:107], v[230:231] neg_lo:[0,1] neg_hi:[0,1]
	v_pk_mul_f32 v[234:235], v[154:155], s[38:39]
	v_mov_b32_e32 v105, v37
	v_pk_add_f32 v[36:37], v[110:111], v[232:233] neg_lo:[0,1] neg_hi:[0,1]
	v_pk_mul_f32 v[236:237], v[162:163], s[4:5]
	v_mov_b32_e32 v113, v37
	v_pk_add_f32 v[36:37], v[120:121], v[234:235] neg_lo:[0,1] neg_hi:[0,1]
	v_pk_mul_f32 v[224:225], v[174:175], s[34:35]
	v_pk_mul_f32 v[84:85], v[174:175], s[42:43]
	v_mov_b32_e32 v123, v37
	v_pk_add_f32 v[36:37], v[130:131], v[236:237] neg_lo:[0,1] neg_hi:[0,1]
	v_pk_mul_f32 v[238:239], v[116:117], s[40:41]
	v_pk_add_f32 v[32:33], v[94:95], v[224:225] neg_lo:[0,1] neg_hi:[0,1]
	v_mov_b32_e32 v127, v37
	v_pk_add_f32 v[36:37], v[156:157], v[84:85] neg_lo:[0,1] neg_hi:[0,1]
	v_pk_mul_f32 v[240:241], v[118:119], s[44:45]
	v_mov_b32_e32 v97, v33
	v_mov_b32_e32 v159, v37
	v_pk_add_f32 v[38:39], v[128:129], v[238:239] neg_lo:[0,1] neg_hi:[0,1]
	v_pk_mul_f32 v[92:93], v[146:147], s[4:5]
	v_pk_add_f32 v[32:33], v[0:1], v[96:97]
	v_pk_add_f32 v[36:37], v[0:1], v[158:159]
	v_mov_b32_e32 v125, v39
	v_pk_add_f32 v[38:39], v[132:133], v[240:241] neg_lo:[0,1] neg_hi:[0,1]
	v_pk_mul_f32 v[88:89], v[154:155], s[34:35]
	v_pk_add_f32 v[32:33], v[100:101], v[32:33]
	v_pk_add_f32 v[36:37], v[124:125], v[36:37]
	;; [unrolled: 5-line block ×3, first 2 shown]
	v_mov_b32_e32 v137, v39
	v_pk_add_f32 v[38:39], v[142:143], v[88:89] neg_lo:[0,1] neg_hi:[0,1]
	v_pk_add_f32 v[32:33], v[112:113], v[32:33]
	v_pk_add_f32 v[36:37], v[136:137], v[36:37]
	v_mov_b32_e32 v141, v39
	v_pk_add_f32 v[38:39], v[152:153], v[86:87] neg_lo:[0,1] neg_hi:[0,1]
	v_pk_add_f32 v[32:33], v[122:123], v[32:33]
	v_pk_add_f32 v[36:37], v[140:141], v[36:37]
	v_mov_b32_e32 v149, v39
	v_pk_mul_f32 v[226:227], v[174:175], s[40:41]
	v_pk_mul_f32 v[174:175], v[174:175], s[18:19]
	v_pk_add_f32 v[32:33], v[126:127], v[32:33]
	v_pk_add_f32 v[36:37], v[148:149], v[36:37]
	v_pk_mul_f32 v[210:211], v[116:117], s[4:5]
	v_pk_mul_f32 v[116:117], v[116:117], s[38:39]
	ds_write2_b64 v90, v[32:33], v[36:37] offset0:20 offset1:30
	v_pk_add_f32 v[36:37], v[198:199], v[174:175] neg_lo:[0,1] neg_hi:[0,1]
	v_pk_mul_f32 v[216:217], v[118:119], s[18:19]
	v_pk_mul_f32 v[118:119], v[118:119], s[34:35]
	v_mov_b32_e32 v197, v37
	v_pk_add_f32 v[38:39], v[168:169], v[116:117] neg_lo:[0,1] neg_hi:[0,1]
	v_pk_mul_f32 v[218:219], v[146:147], s[26:27]
	v_pk_mul_f32 v[146:147], v[146:147], s[50:51]
	v_pk_add_f32 v[36:37], v[0:1], v[196:197]
	v_mov_b32_e32 v167, v39
	v_pk_add_f32 v[38:39], v[172:173], v[118:119] neg_lo:[0,1] neg_hi:[0,1]
	v_pk_mul_f32 v[222:223], v[154:155], s[22:23]
	v_pk_mul_f32 v[154:155], v[154:155], s[4:5]
	v_pk_add_f32 v[36:37], v[166:167], v[36:37]
	v_mov_b32_e32 v171, v39
	v_pk_add_f32 v[38:39], v[178:179], v[146:147] neg_lo:[0,1] neg_hi:[0,1]
	v_pk_mul_f32 v[244:245], v[162:163], s[22:23]
	v_pk_add_f32 v[246:247], v[248:249], v[246:247]
	v_pk_add_f32 v[36:37], v[170:171], v[36:37]
	v_mov_b32_e32 v183, v39
	v_pk_add_f32 v[38:39], v[188:189], v[154:155] neg_lo:[0,1] neg_hi:[0,1]
	v_mul_f32_e32 v242, 0x3f116cb1, v162
	v_mov_b32_e32 v243, v150
	v_mov_b32_e32 v79, v246
	v_pk_add_f32 v[36:37], v[182:183], v[36:37]
	v_mov_b32_e32 v187, v39
	v_pk_add_f32 v[38:39], v[194:195], v[244:245] neg_lo:[0,1] neg_hi:[0,1]
	v_pk_add_f32 v[32:33], v[242:243], v[78:79]
	v_mov_b32_e32 v83, v164
	v_pk_add_f32 v[36:37], v[186:187], v[36:37]
	v_mov_b32_e32 v193, v39
	v_pk_add_f32 v[32:33], v[32:33], v[82:83]
	v_pk_add_f32 v[36:37], v[192:193], v[36:37]
	ds_write2_b64 v90, v[32:33], v[36:37] offset0:40 offset1:50
	v_pk_add_f32 v[32:33], v[72:73], v[226:227] neg_lo:[0,1] neg_hi:[0,1]
	v_pk_add_f32 v[4:5], v[4:5], v[210:211] neg_lo:[0,1] neg_hi:[0,1]
	v_mov_b32_e32 v75, v33
	v_pk_add_f32 v[0:1], v[0:1], v[74:75]
	v_mov_b32_e32 v7, v5
	v_pk_add_f32 v[4:5], v[10:11], v[216:217] neg_lo:[0,1] neg_hi:[0,1]
	v_pk_add_f32 v[0:1], v[6:7], v[0:1]
	v_mov_b32_e32 v13, v5
	v_pk_add_f32 v[4:5], v[14:15], v[218:219] neg_lo:[0,1] neg_hi:[0,1]
	v_pk_mul_f32 v[162:163], v[162:163], s[38:39]
	v_pk_add_f32 v[0:1], v[12:13], v[0:1]
	v_mov_b32_e32 v17, v5
	v_pk_add_f32 v[4:5], v[54:55], v[222:223] neg_lo:[0,1] neg_hi:[0,1]
	v_pk_add_f32 v[0:1], v[16:17], v[0:1]
	v_mov_b32_e32 v57, v5
	v_pk_add_f32 v[4:5], v[184:185], v[162:163] neg_lo:[0,1] neg_hi:[0,1]
	v_pk_add_f32 v[0:1], v[56:57], v[0:1]
	v_mov_b32_e32 v181, v5
	v_pk_add_f32 v[0:1], v[180:181], v[0:1]
	v_mov_b32_e32 v23, v2
	v_mov_b32_e32 v41, v3
	ds_write2_b64 v90, v[0:1], v[8:9] offset0:60 offset1:70
	ds_write2_b64 v90, v[48:49], v[22:23] offset0:80 offset1:90
	;; [unrolled: 1-line block ×3, first 2 shown]
	ds_write_b64 v90, v[40:41] offset:960
.LBB0_25:
	s_or_b64 exec, exec, s[52:53]
	s_waitcnt lgkmcnt(0)
	s_barrier
	ds_read_b64 v[4:5], v35
	ds_read_b64 v[12:13], v35 offset:2080
	ds_read_b64 v[6:7], v35 offset:4160
	;; [unrolled: 1-line block ×6, first 2 shown]
	s_movk_i32 s2, 0x4e
	v_cmp_gt_u32_e32 vcc, s2, v28
	s_movk_i32 s2, 0x4d
	v_cmp_lt_u32_e64 s[2:3], s2, v28
	s_and_saveexec_b64 s[4:5], s[2:3]
	s_xor_b64 s[2:3], exec, s[4:5]
	s_or_saveexec_b64 s[2:3], s[2:3]
                                        ; implicit-def: $vgpr0
	s_xor_b64 exec, exec, s[2:3]
	s_cbranch_execz .LBB0_27
; %bb.26:
	v_add_u32_e32 v0, 0x1400, v35
	ds_read2_b32 v[22:23], v0 offset0:124 offset1:125
	ds_read_b64 v[8:9], v35 offset:1456
	ds_read_b64 v[48:49], v35 offset:3536
	;; [unrolled: 1-line block ×6, first 2 shown]
	s_waitcnt lgkmcnt(6)
	v_mov_b32_e32 v2, v23
	s_waitcnt lgkmcnt(1)
	v_mov_b32_e32 v3, v41
.LBB0_27:
	s_or_b64 exec, exec, s[2:3]
	s_movk_i32 s2, 0x82
	v_add_u32_e32 v23, 0xffffff7e, v28
	v_cmp_gt_u32_e64 s[2:3], s2, v28
	v_mov_b32_e32 v37, 0
	s_waitcnt lgkmcnt(2)
	v_mov_b32_e32 v54, v17
	v_cndmask_b32_e64 v23, v23, v28, s[2:3]
	v_mul_i32_i24_e32 v36, 6, v23
	v_lshl_add_u64 v[46:47], v[36:37], 3, s[8:9]
	global_load_dwordx4 v[36:39], v[46:47], off offset:976
	global_load_dwordx4 v[42:45], v[46:47], off offset:960
	;; [unrolled: 1-line block ×3, first 2 shown]
	v_mov_b32_e32 v46, v33
	v_mov_b32_e32 v47, v32
	s_movk_i32 s2, 0x81
	v_mov_b32_e32 v55, v16
	v_mov_b32_e32 v17, 0x1c70
	v_cmp_lt_u32_e64 s[2:3], s2, v28
	v_mov_b32_e32 v34, v13
	v_mov_b32_e32 v56, v7
	s_waitcnt lgkmcnt(1)
	v_mov_b32_e32 v58, v15
	s_waitcnt lgkmcnt(0)
	v_mov_b32_e32 v60, v11
	v_cndmask_b32_e64 v17, 0, v17, s[2:3]
	v_lshlrev_b32_e32 v23, 3, v23
	v_add3_u32 v23, 0, v17, v23
	s_mov_b32 s12, 0x3f08b237
	s_mov_b32 s18, 0x3d64c772
	;; [unrolled: 1-line block ×10, first 2 shown]
	s_barrier
	s_mov_b32 s14, 0xbf5ff5aa
	s_mov_b32 s16, 0x3f3bfb3b
	s_waitcnt vmcnt(2)
	v_pk_mul_f32 v[64:65], v[36:37], v[46:47]
	v_mov_b32_e32 v62, v37
	v_mov_b32_e32 v64, v39
	v_pk_mul_f32 v[66:67], v[38:39], v[54:55]
	s_waitcnt vmcnt(1)
	v_pk_mul_f32 v[68:69], v[42:43], v[12:13] op_sel_hi:[1,0]
	v_pk_mul_f32 v[70:71], v[44:45], v[6:7] op_sel_hi:[1,0]
	s_waitcnt vmcnt(0)
	v_pk_mul_f32 v[72:73], v[50:51], v[14:15] op_sel_hi:[1,0]
	v_pk_mul_f32 v[74:75], v[52:53], v[10:11] op_sel_hi:[1,0]
	v_pk_mul_f32 v[32:33], v[36:37], v[32:33] op_sel_hi:[1,0]
	v_pk_mul_f32 v[16:17], v[38:39], v[16:17] op_sel_hi:[1,0]
	v_pk_mul_f32 v[62:63], v[62:63], v[46:47]
	v_mov_b32_e32 v66, v65
	v_pk_mul_f32 v[64:65], v[64:65], v[54:55]
	v_pk_fma_f32 v[78:79], v[42:43], v[34:35], v[68:69] op_sel:[0,0,1] op_sel_hi:[1,1,0] neg_lo:[0,0,1] neg_hi:[0,0,1]
	v_pk_fma_f32 v[12:13], v[42:43], v[12:13], v[68:69] op_sel:[0,1,1] op_sel_hi:[1,1,0]
	v_pk_fma_f32 v[42:43], v[44:45], v[56:57], v[70:71] op_sel:[0,0,1] op_sel_hi:[1,1,0] neg_lo:[0,0,1] neg_hi:[0,0,1]
	v_pk_fma_f32 v[6:7], v[44:45], v[6:7], v[70:71] op_sel:[0,1,1] op_sel_hi:[1,1,0]
	;; [unrolled: 2-line block ×3, first 2 shown]
	v_pk_fma_f32 v[50:51], v[52:53], v[60:61], v[74:75] op_sel:[0,0,1] op_sel_hi:[1,1,0] neg_lo:[0,0,1] neg_hi:[0,0,1]
	v_mov_b32_e32 v76, v67
	v_pk_fma_f32 v[10:11], v[52:53], v[10:11], v[74:75] op_sel:[0,1,1] op_sel_hi:[1,1,0]
	v_mov_b32_e32 v17, v78
	v_mov_b32_e32 v65, v50
	;; [unrolled: 1-line block ×4, first 2 shown]
	v_pk_fma_f32 v[36:37], v[36:37], v[46:47], v[66:67] neg_lo:[0,0,1] neg_hi:[0,0,1]
	v_pk_fma_f32 v[38:39], v[38:39], v[54:55], v[76:77] neg_lo:[0,0,1] neg_hi:[0,0,1]
	v_mov_b32_e32 v79, v13
	v_mov_b32_e32 v43, v7
	;; [unrolled: 1-line block ×4, first 2 shown]
	v_pk_add_f32 v[16:17], v[16:17], v[64:65]
	v_pk_add_f32 v[32:33], v[32:33], v[62:63]
	;; [unrolled: 1-line block ×4, first 2 shown]
	v_mov_b32_e32 v39, v16
	v_mov_b32_e32 v37, v32
	v_pk_add_f32 v[10:11], v[78:79], v[50:51] neg_lo:[0,1] neg_hi:[0,1]
	v_pk_add_f32 v[14:15], v[42:43], v[44:45] neg_lo:[0,1] neg_hi:[0,1]
	v_mov_b32_e32 v43, v36
	v_mov_b32_e32 v45, v38
	;; [unrolled: 1-line block ×4, first 2 shown]
	v_pk_add_f32 v[36:37], v[38:39], v[36:37] neg_lo:[0,1] neg_hi:[0,1]
	v_mov_b32_e32 v47, v11
	v_mov_b32_e32 v50, v14
	v_pk_add_f32 v[56:57], v[32:33], v[16:17]
	v_pk_add_f32 v[38:39], v[42:43], v[44:45]
	v_mov_b32_e32 v46, v36
	v_mov_b32_e32 v51, v37
	;; [unrolled: 1-line block ×6, first 2 shown]
	v_pk_add_f32 v[42:43], v[46:47], v[50:51] neg_lo:[0,1] neg_hi:[0,1]
	v_mov_b32_e32 v16, v56
	v_mov_b32_e32 v50, v13
	;; [unrolled: 1-line block ×3, first 2 shown]
	v_pk_add_f32 v[44:45], v[52:53], v[54:55] neg_lo:[0,1] neg_hi:[0,1]
	v_pk_add_f32 v[50:51], v[16:17], v[50:51] neg_lo:[0,1] neg_hi:[0,1]
	v_mov_b32_e32 v52, v7
	v_mov_b32_e32 v53, v39
	;; [unrolled: 1-line block ×3, first 2 shown]
	v_pk_add_f32 v[38:39], v[38:39], v[56:57]
	v_pk_add_f32 v[36:37], v[36:37], v[14:15]
	v_pk_mul_f32 v[42:43], v[42:43], s[12:13]
	v_pk_add_f32 v[52:53], v[52:53], v[32:33] neg_lo:[0,1] neg_hi:[0,1]
	v_pk_add_f32 v[4:5], v[38:39], v[4:5]
	v_pk_mul_f32 v[50:51], v[50:51], s[18:19]
	v_pk_add_f32 v[36:37], v[36:37], v[10:11]
	v_pk_mul_f32 v[46:47], v[44:45], s[2:3]
	v_pk_mul_f32 v[54:55], v[52:53], s[22:23]
	v_pk_fma_f32 v[38:39], v[38:39], s[20:21], v[4:5] op_sel_hi:[1,0,1]
	v_pk_fma_f32 v[52:53], v[52:53], s[22:23], v[50:51]
	v_pk_fma_f32 v[44:45], v[44:45], s[2:3], v[42:43]
	v_pk_add_f32 v[52:53], v[52:53], v[38:39]
	v_pk_fma_f32 v[44:45], v[36:37], s[4:5], v[44:45] op_sel_hi:[1,0,1]
	v_mov_b32_e32 v32, v13
	v_pk_add_f32 v[56:57], v[52:53], v[44:45]
	v_pk_add_f32 v[44:45], v[52:53], v[44:45] neg_lo:[0,1] neg_hi:[0,1]
	v_mov_b32_e32 v52, v56
	v_mov_b32_e32 v53, v45
	v_mov_b32_e32 v16, v7
	ds_write2_b64 v23, v[4:5], v[52:53] offset1:130
	v_pk_add_f32 v[4:5], v[14:15], v[10:11] neg_lo:[0,1] neg_hi:[0,1]
	v_pk_add_f32 v[6:7], v[32:33], v[16:17] neg_lo:[0,1] neg_hi:[0,1]
	v_mov_b32_e32 v10, v54
	v_mov_b32_e32 v11, v51
	;; [unrolled: 1-line block ×6, first 2 shown]
	v_pk_fma_f32 v[10:11], v[6:7], s[16:17], v[10:11] op_sel_hi:[1,0,1] neg_lo:[1,0,1] neg_hi:[1,0,1]
	v_pk_fma_f32 v[12:13], v[4:5], s[14:15], v[12:13] op_sel_hi:[1,0,1] neg_lo:[1,0,1] neg_hi:[1,0,1]
	;; [unrolled: 1-line block ×4, first 2 shown]
	v_pk_add_f32 v[10:11], v[10:11], v[38:39]
	v_pk_fma_f32 v[12:13], v[36:37], s[4:5], v[12:13] op_sel_hi:[1,0,1]
	v_pk_add_f32 v[6:7], v[6:7], v[38:39]
	v_pk_fma_f32 v[4:5], v[36:37], s[4:5], v[4:5] op_sel_hi:[1,0,1]
	v_pk_add_f32 v[14:15], v[10:11], v[12:13]
	v_pk_add_f32 v[10:11], v[10:11], v[12:13] neg_lo:[0,1] neg_hi:[0,1]
	v_pk_add_f32 v[16:17], v[6:7], v[4:5] neg_lo:[0,1] neg_hi:[0,1]
	v_pk_add_f32 v[4:5], v[6:7], v[4:5]
	v_mov_b32_e32 v12, v14
	v_mov_b32_e32 v13, v11
	v_mov_b32_e32 v6, v16
	v_mov_b32_e32 v7, v5
	v_add_u32_e32 v5, 0x800, v23
	ds_write2_b64 v5, v[12:13], v[6:7] offset0:4 offset1:134
	v_mov_b32_e32 v5, v17
	v_mov_b32_e32 v11, v15
	s_movk_i32 s5, 0x1000
	v_add_u32_e32 v6, 0x1000, v23
	v_mov_b32_e32 v45, v57
	ds_write2_b64 v6, v[4:5], v[10:11] offset0:8 offset1:138
	ds_write_b64 v23, v[44:45] offset:6240
	s_and_saveexec_b64 s[24:25], vcc
	s_cbranch_execz .LBB0_29
; %bb.28:
	v_add_u32_e32 v4, 0xb6, v28
	s_movk_i32 s15, 0xfc1
	v_mul_u32_u24_sdwa v5, v4, s15 dst_sel:DWORD dst_unused:UNUSED_PAD src0_sel:WORD_0 src1_sel:DWORD
	v_lshrrev_b32_e32 v5, 19, v5
	v_mul_lo_u16_e32 v5, 0x82, v5
	v_sub_u16_e32 v23, v4, v5
	v_mul_u32_u24_e32 v4, 6, v23
	v_lshlrev_b32_e32 v32, 3, v4
	global_load_dwordx4 v[4:7], v32, s[8:9] offset:976
	global_load_dwordx4 v[10:13], v32, s[8:9] offset:960
	;; [unrolled: 1-line block ×3, first 2 shown]
	v_mov_b32_e32 v32, v49
	v_mov_b32_e32 v34, v49
	;; [unrolled: 1-line block ×5, first 2 shown]
	v_lshl_add_u32 v56, v23, 3, 0
	v_add_u32_e32 v57, 0x1c00, v56
	s_waitcnt vmcnt(2)
	v_mov_b32_e32 v44, v7
	v_mov_b32_e32 v45, v6
	s_waitcnt vmcnt(1)
	v_pk_mul_f32 v[46:47], v[48:49], v[10:11] op_sel_hi:[0,1]
	s_waitcnt vmcnt(0)
	v_pk_mul_f32 v[0:1], v[0:1], v[16:17] op_sel_hi:[0,1]
	v_pk_mul_f32 v[22:23], v[22:23], v[12:13] op_sel_hi:[0,1]
	;; [unrolled: 1-line block ×3, first 2 shown]
	v_pk_mul_f32 v[6:7], v[18:19], v[6:7]
	v_pk_mul_f32 v[48:49], v[20:21], v[4:5]
	v_pk_mul_f32 v[42:43], v[42:43], v[4:5] op_sel:[0,1] op_sel_hi:[1,0]
	v_pk_mul_f32 v[50:51], v[20:21], v[4:5] op_sel:[0,1] op_sel_hi:[1,0]
	v_pk_mul_f32 v[38:39], v[38:39], v[44:45]
	v_pk_mul_f32 v[52:53], v[18:19], v[44:45]
	v_pk_fma_f32 v[54:55], v[36:37], v[16:17], v[0:1] op_sel:[0,0,1] op_sel_hi:[0,1,0] neg_lo:[0,0,1] neg_hi:[0,0,1]
	v_pk_fma_f32 v[0:1], v[36:37], v[16:17], v[0:1] op_sel:[0,0,1] op_sel_hi:[0,1,0]
	v_pk_fma_f32 v[16:17], v[32:33], v[10:11], v[46:47] op_sel:[0,0,1] op_sel_hi:[1,1,0] neg_lo:[0,0,1] neg_hi:[0,0,1]
	v_pk_fma_f32 v[10:11], v[34:35], v[10:11], v[46:47] op_sel:[0,0,1] op_sel_hi:[0,1,0]
	v_pk_fma_f32 v[32:33], v[2:3], v[14:15], v[40:41] op_sel:[1,0,1] op_sel_hi:[1,1,0] neg_lo:[0,0,1] neg_hi:[0,0,1]
	v_pk_fma_f32 v[14:15], v[2:3], v[14:15], v[40:41] op_sel:[1,0,1] op_sel_hi:[1,1,0]
	v_pk_fma_f32 v[36:37], v[2:3], v[12:13], v[22:23] op_sel:[0,0,1] op_sel_hi:[1,1,0] neg_lo:[0,0,1] neg_hi:[0,0,1]
	v_pk_fma_f32 v[2:3], v[2:3], v[12:13], v[22:23] op_sel:[0,0,1] op_sel_hi:[0,1,0]
	v_mov_b32_e32 v50, v51
	v_mov_b32_e32 v0, v53
	;; [unrolled: 1-line block ×10, first 2 shown]
	v_pk_fma_f32 v[4:5], v[20:21], v[4:5], v[50:51] op_sel:[0,1,0] op_sel_hi:[1,0,1] neg_lo:[1,0,0] neg_hi:[1,0,0]
	v_pk_fma_f32 v[0:1], v[18:19], v[44:45], v[0:1] neg_lo:[1,0,0] neg_hi:[1,0,0]
	v_pk_add_f32 v[2:3], v[16:17], v[54:55]
	v_pk_add_f32 v[10:11], v[36:37], v[32:33]
	v_pk_add_f32 v[12:13], v[16:17], v[54:55] neg_lo:[0,1] neg_hi:[0,1]
	v_pk_add_f32 v[6:7], v[6:7], v[38:39]
	v_pk_add_f32 v[16:17], v[48:49], v[42:43]
	v_pk_add_f32 v[14:15], v[36:37], v[32:33] neg_lo:[0,1] neg_hi:[0,1]
	v_mov_b32_e32 v19, v4
	v_mov_b32_e32 v1, v6
	;; [unrolled: 1-line block ×6, first 2 shown]
	v_pk_add_f32 v[38:39], v[16:17], v[6:7]
	v_pk_add_f32 v[0:1], v[0:1], v[4:5] neg_lo:[0,1] neg_hi:[0,1]
	v_pk_add_f32 v[4:5], v[18:19], v[36:37]
	v_mov_b32_e32 v23, v15
	v_pk_add_f32 v[40:41], v[14:15], v[12:13] neg_lo:[0,1] neg_hi:[0,1]
	v_mov_b32_e32 v22, v0
	v_pk_add_f32 v[18:19], v[0:1], v[14:15]
	v_mov_b32_e32 v32, v0
	v_mov_b32_e32 v0, v14
	v_pk_add_f32 v[14:15], v[4:5], v[38:39]
	v_mov_b32_e32 v4, v3
	v_mov_b32_e32 v39, v17
	;; [unrolled: 1-line block ×4, first 2 shown]
	v_pk_add_f32 v[12:13], v[18:19], v[12:13]
	v_pk_add_f32 v[18:19], v[4:5], v[38:39] neg_lo:[0,1] neg_hi:[0,1]
	v_mov_b32_e32 v39, v7
	v_mov_b32_e32 v4, v11
	;; [unrolled: 1-line block ×3, first 2 shown]
	v_pk_add_f32 v[0:1], v[32:33], v[0:1] neg_lo:[0,1] neg_hi:[0,1]
	v_pk_add_f32 v[4:5], v[38:39], v[4:5] neg_lo:[0,1] neg_hi:[0,1]
	;; [unrolled: 1-line block ×3, first 2 shown]
	v_pk_add_f32 v[8:9], v[8:9], v[14:15]
	v_pk_mul_f32 v[0:1], v[0:1], s[12:13]
	v_pk_mul_f32 v[4:5], v[4:5], s[18:19]
	;; [unrolled: 1-line block ×4, first 2 shown]
	v_pk_fma_f32 v[14:15], v[14:15], s[20:21], v[8:9] op_sel_hi:[1,0,1]
	v_pk_fma_f32 v[20:21], v[20:21], s[2:3], v[0:1]
	v_pk_fma_f32 v[18:19], v[18:19], s[22:23], v[4:5]
	v_pk_fma_f32 v[20:21], v[12:13], s[4:5], v[20:21] op_sel_hi:[1,0,1]
	v_pk_add_f32 v[18:19], v[18:19], v[14:15]
	v_mov_b32_e32 v16, v11
	v_mov_b32_e32 v6, v3
	;; [unrolled: 1-line block ×4, first 2 shown]
	v_pk_add_f32 v[38:39], v[18:19], v[20:21]
	v_pk_add_f32 v[18:19], v[18:19], v[20:21] neg_lo:[0,1] neg_hi:[0,1]
	v_pk_add_f32 v[2:3], v[16:17], v[6:7] neg_lo:[0,1] neg_hi:[0,1]
	v_mov_b32_e32 v6, v32
	v_mov_b32_e32 v7, v5
	v_mov_b32_e32 v1, v23
	v_mov_b32_e32 v5, v33
	v_pk_fma_f32 v[36:37], v[40:41], s[14:15], v[36:37] op_sel_hi:[1,0,1] neg_lo:[1,0,1] neg_hi:[1,0,1]
	v_mov_b32_e32 v20, v38
	v_mov_b32_e32 v21, v19
	v_pk_fma_f32 v[6:7], v[2:3], s[16:17], v[6:7] op_sel_hi:[1,0,1] neg_lo:[1,0,1] neg_hi:[1,0,1]
	v_pk_fma_f32 v[0:1], v[40:41], s[14:15], v[0:1] op_sel_hi:[1,0,1] neg_lo:[0,0,1] neg_hi:[0,0,1]
	v_pk_fma_f32 v[2:3], v[2:3], s[16:17], v[4:5] op_sel_hi:[1,0,1] neg_lo:[0,0,1] neg_hi:[0,0,1]
	ds_write2_b64 v57, v[8:9], v[20:21] offset0:14 offset1:144
	v_pk_fma_f32 v[8:9], v[12:13], s[4:5], v[36:37] op_sel_hi:[1,0,1]
	v_pk_add_f32 v[6:7], v[6:7], v[14:15]
	v_pk_fma_f32 v[0:1], v[12:13], s[4:5], v[0:1] op_sel_hi:[1,0,1]
	v_pk_add_f32 v[2:3], v[2:3], v[14:15]
	v_pk_add_f32 v[10:11], v[6:7], v[8:9]
	v_pk_add_f32 v[6:7], v[6:7], v[8:9] neg_lo:[0,1] neg_hi:[0,1]
	v_pk_add_f32 v[4:5], v[2:3], v[0:1] neg_lo:[0,1] neg_hi:[0,1]
	v_pk_add_f32 v[0:1], v[2:3], v[0:1]
	v_mov_b32_e32 v8, v10
	v_mov_b32_e32 v9, v7
	;; [unrolled: 1-line block ×4, first 2 shown]
	v_add_u32_e32 v1, 0x2400, v56
	ds_write2_b64 v1, v[8:9], v[2:3] offset0:18 offset1:148
	v_mov_b32_e32 v1, v5
	v_mov_b32_e32 v7, v11
	v_add_u32_e32 v2, 0x2c00, v56
	v_mov_b32_e32 v19, v39
	ds_write2_b64 v2, v[0:1], v[6:7] offset0:22 offset1:152
	ds_write_b64 v56, v[18:19] offset:13520
.LBB0_29:
	s_or_b64 exec, exec, s[24:25]
	v_lshl_add_u64 v[0:1], v[30:31], 3, s[8:9]
	v_add_co_u32_e32 v0, vcc, s5, v0
	s_movk_i32 s2, 0x2000
	v_lshl_add_u64 v[2:3], v[28:29], 3, s[8:9]
	v_addc_co_u32_e32 v1, vcc, 0, v1, vcc
	v_add_co_u32_e32 v4, vcc, s2, v2
	s_movk_i32 s2, 0x3000
	s_nop 0
	v_addc_co_u32_e32 v5, vcc, 0, v3, vcc
	s_waitcnt lgkmcnt(0)
	s_barrier
	global_load_dwordx2 v[20:21], v[0:1], off offset:3104
	global_load_dwordx2 v[22:23], v[4:5], off offset:464
	;; [unrolled: 1-line block ×4, first 2 shown]
	v_add_co_u32_e32 v0, vcc, s2, v2
	v_add_u32_e32 v29, 0x1600, v35
	s_nop 0
	v_addc_co_u32_e32 v1, vcc, 0, v3, vcc
	global_load_dwordx2 v[36:37], v[0:1], off offset:736
	ds_read2_b64 v[0:3], v35 offset1:182
	v_add_u32_e32 v34, 0x2000, v35
	v_add_u32_e32 v50, 0xa00, v35
	;; [unrolled: 1-line block ×3, first 2 shown]
	ds_read2_b64 v[4:7], v29 offset0:24 offset1:206
	ds_read2_b64 v[8:11], v34 offset0:68 offset1:250
	;; [unrolled: 1-line block ×4, first 2 shown]
	s_waitcnt lgkmcnt(0)
	s_barrier
	s_waitcnt vmcnt(4)
	v_pk_mul_f32 v[38:39], v[20:21], v[6:7] op_sel:[0,1]
	s_waitcnt vmcnt(3)
	v_pk_mul_f32 v[40:41], v[22:23], v[8:9] op_sel:[0,1]
	;; [unrolled: 2-line block ×4, first 2 shown]
	v_pk_fma_f32 v[48:49], v[20:21], v[6:7], v[38:39] op_sel:[0,0,1] op_sel_hi:[1,1,0]
	v_pk_fma_f32 v[6:7], v[20:21], v[6:7], v[38:39] op_sel:[0,0,1] op_sel_hi:[1,0,0] neg_lo:[1,0,0] neg_hi:[1,0,0]
	v_pk_fma_f32 v[20:21], v[22:23], v[8:9], v[40:41] op_sel:[0,0,1] op_sel_hi:[1,1,0]
	v_pk_fma_f32 v[8:9], v[22:23], v[8:9], v[40:41] op_sel:[0,0,1] op_sel_hi:[1,0,0] neg_lo:[1,0,0] neg_hi:[1,0,0]
	v_pk_fma_f32 v[22:23], v[30:31], v[10:11], v[42:43] op_sel:[0,0,1] op_sel_hi:[1,1,0]
	s_waitcnt vmcnt(0)
	v_pk_mul_f32 v[46:47], v[36:37], v[18:19] op_sel:[0,1]
	v_pk_fma_f32 v[10:11], v[30:31], v[10:11], v[42:43] op_sel:[0,0,1] op_sel_hi:[1,0,0] neg_lo:[1,0,0] neg_hi:[1,0,0]
	v_pk_fma_f32 v[30:31], v[32:33], v[16:17], v[44:45] op_sel:[0,0,1] op_sel_hi:[1,1,0]
	v_pk_fma_f32 v[16:17], v[32:33], v[16:17], v[44:45] op_sel:[0,0,1] op_sel_hi:[1,0,0] neg_lo:[1,0,0] neg_hi:[1,0,0]
	v_pk_fma_f32 v[32:33], v[36:37], v[18:19], v[46:47] op_sel:[0,0,1] op_sel_hi:[1,1,0]
	v_pk_fma_f32 v[18:19], v[36:37], v[18:19], v[46:47] op_sel:[0,0,1] op_sel_hi:[1,0,0] neg_lo:[1,0,0] neg_hi:[1,0,0]
	v_mov_b32_e32 v49, v7
	v_mov_b32_e32 v21, v9
	;; [unrolled: 1-line block ×5, first 2 shown]
	v_pk_add_f32 v[6:7], v[0:1], v[48:49] neg_lo:[0,1] neg_hi:[0,1]
	v_pk_add_f32 v[8:9], v[2:3], v[20:21] neg_lo:[0,1] neg_hi:[0,1]
	v_pk_add_f32 v[10:11], v[12:13], v[22:23] neg_lo:[0,1] neg_hi:[0,1]
	v_pk_add_f32 v[16:17], v[14:15], v[30:31] neg_lo:[0,1] neg_hi:[0,1]
	v_pk_add_f32 v[18:19], v[4:5], v[32:33] neg_lo:[0,1] neg_hi:[0,1]
	v_pk_fma_f32 v[0:1], v[0:1], 2.0, v[6:7] op_sel_hi:[1,0,1] neg_lo:[0,0,1] neg_hi:[0,0,1]
	v_pk_fma_f32 v[2:3], v[2:3], 2.0, v[8:9] op_sel_hi:[1,0,1] neg_lo:[0,0,1] neg_hi:[0,0,1]
	v_pk_fma_f32 v[12:13], v[12:13], 2.0, v[10:11] op_sel_hi:[1,0,1] neg_lo:[0,0,1] neg_hi:[0,0,1]
	v_pk_fma_f32 v[14:15], v[14:15], 2.0, v[16:17] op_sel_hi:[1,0,1] neg_lo:[0,0,1] neg_hi:[0,0,1]
	v_pk_fma_f32 v[4:5], v[4:5], 2.0, v[18:19] op_sel_hi:[1,0,1] neg_lo:[0,0,1] neg_hi:[0,0,1]
	ds_write2_b64 v34, v[8:9], v[10:11] offset0:68 offset1:250
	ds_write2_b64 v51, v[16:17], v[18:19] offset0:48 offset1:230
	ds_write2_b64 v35, v[0:1], v[2:3] offset1:182
	ds_write2_b64 v50, v[12:13], v[14:15] offset0:44 offset1:226
	ds_write2_b64 v29, v[4:5], v[6:7] offset0:24 offset1:206
	s_waitcnt lgkmcnt(0)
	s_barrier
	s_and_saveexec_b64 s[2:3], s[0:1]
	s_cbranch_execz .LBB0_31
; %bb.30:
	v_mul_lo_u32 v0, s11, v26
	v_mul_lo_u32 v1, s10, v27
	v_mad_u64_u32 v[4:5], s[0:1], s10, v26, 0
	v_lshl_add_u32 v10, v28, 3, 0
	v_add3_u32 v5, v5, v1, v0
	ds_read2_b64 v[0:3], v10 offset1:182
	v_lshl_add_u64 v[4:5], v[4:5], 3, s[6:7]
	v_mov_b32_e32 v29, 0
	v_lshl_add_u64 v[8:9], v[24:25], 3, v[4:5]
	v_lshl_add_u64 v[4:5], v[28:29], 3, v[8:9]
	s_waitcnt lgkmcnt(0)
	global_store_dwordx2 v[4:5], v[0:1], off
	v_add_u32_e32 v4, 0xa00, v10
	ds_read2_b64 v[4:7], v4 offset0:44 offset1:226
	v_add_u32_e32 v0, 0xb6, v28
	v_mov_b32_e32 v1, v29
	v_lshl_add_u64 v[0:1], v[0:1], 3, v[8:9]
	global_store_dwordx2 v[0:1], v[2:3], off
	v_add_u32_e32 v0, 0x16c, v28
	v_mov_b32_e32 v1, v29
	v_lshl_add_u64 v[0:1], v[0:1], 3, v[8:9]
	s_waitcnt lgkmcnt(0)
	global_store_dwordx2 v[0:1], v[4:5], off
	v_add_u32_e32 v0, 0x222, v28
	v_mov_b32_e32 v1, v29
	v_lshl_add_u64 v[4:5], v[0:1], 3, v[8:9]
	v_add_u32_e32 v0, 0x1600, v10
	ds_read2_b64 v[0:3], v0 offset0:24 offset1:206
	global_store_dwordx2 v[4:5], v[6:7], off
	v_add_u32_e32 v4, 0x2d8, v28
	v_mov_b32_e32 v5, v29
	v_lshl_add_u64 v[4:5], v[4:5], 3, v[8:9]
	s_waitcnt lgkmcnt(0)
	global_store_dwordx2 v[4:5], v[0:1], off
	v_add_u32_e32 v4, 0x2000, v10
	ds_read2_b64 v[4:7], v4 offset0:68 offset1:250
	v_add_u32_e32 v0, 0x38e, v28
	v_mov_b32_e32 v1, v29
	v_lshl_add_u64 v[0:1], v[0:1], 3, v[8:9]
	global_store_dwordx2 v[0:1], v[2:3], off
	v_add_u32_e32 v0, 0x444, v28
	v_mov_b32_e32 v1, v29
	v_lshl_add_u64 v[0:1], v[0:1], 3, v[8:9]
	s_waitcnt lgkmcnt(0)
	global_store_dwordx2 v[0:1], v[4:5], off
	v_add_u32_e32 v0, 0x4fa, v28
	v_mov_b32_e32 v1, v29
	v_lshl_add_u64 v[4:5], v[0:1], 3, v[8:9]
	v_add_u32_e32 v0, 0x2c00, v10
	ds_read2_b64 v[0:3], v0 offset0:48 offset1:230
	global_store_dwordx2 v[4:5], v[6:7], off
	v_add_u32_e32 v4, 0x5b0, v28
	v_mov_b32_e32 v5, v29
	v_lshl_add_u64 v[4:5], v[4:5], 3, v[8:9]
	v_add_u32_e32 v28, 0x666, v28
	s_waitcnt lgkmcnt(0)
	global_store_dwordx2 v[4:5], v[0:1], off
	v_lshl_add_u64 v[0:1], v[28:29], 3, v[8:9]
	global_store_dwordx2 v[0:1], v[2:3], off
.LBB0_31:
	s_endpgm
	.section	.rodata,"a",@progbits
	.p2align	6, 0x0
	.amdhsa_kernel fft_rtc_back_len1820_factors_10_13_7_2_wgs_182_tpt_182_halfLds_sp_op_CI_CI_unitstride_sbrr_C2R_dirReg
		.amdhsa_group_segment_fixed_size 0
		.amdhsa_private_segment_fixed_size 0
		.amdhsa_kernarg_size 104
		.amdhsa_user_sgpr_count 2
		.amdhsa_user_sgpr_dispatch_ptr 0
		.amdhsa_user_sgpr_queue_ptr 0
		.amdhsa_user_sgpr_kernarg_segment_ptr 1
		.amdhsa_user_sgpr_dispatch_id 0
		.amdhsa_user_sgpr_kernarg_preload_length 0
		.amdhsa_user_sgpr_kernarg_preload_offset 0
		.amdhsa_user_sgpr_private_segment_size 0
		.amdhsa_uses_dynamic_stack 0
		.amdhsa_enable_private_segment 0
		.amdhsa_system_sgpr_workgroup_id_x 1
		.amdhsa_system_sgpr_workgroup_id_y 0
		.amdhsa_system_sgpr_workgroup_id_z 0
		.amdhsa_system_sgpr_workgroup_info 0
		.amdhsa_system_vgpr_workitem_id 0
		.amdhsa_next_free_vgpr 252
		.amdhsa_next_free_sgpr 64
		.amdhsa_accum_offset 252
		.amdhsa_reserve_vcc 1
		.amdhsa_float_round_mode_32 0
		.amdhsa_float_round_mode_16_64 0
		.amdhsa_float_denorm_mode_32 3
		.amdhsa_float_denorm_mode_16_64 3
		.amdhsa_dx10_clamp 1
		.amdhsa_ieee_mode 1
		.amdhsa_fp16_overflow 0
		.amdhsa_tg_split 0
		.amdhsa_exception_fp_ieee_invalid_op 0
		.amdhsa_exception_fp_denorm_src 0
		.amdhsa_exception_fp_ieee_div_zero 0
		.amdhsa_exception_fp_ieee_overflow 0
		.amdhsa_exception_fp_ieee_underflow 0
		.amdhsa_exception_fp_ieee_inexact 0
		.amdhsa_exception_int_div_zero 0
	.end_amdhsa_kernel
	.text
.Lfunc_end0:
	.size	fft_rtc_back_len1820_factors_10_13_7_2_wgs_182_tpt_182_halfLds_sp_op_CI_CI_unitstride_sbrr_C2R_dirReg, .Lfunc_end0-fft_rtc_back_len1820_factors_10_13_7_2_wgs_182_tpt_182_halfLds_sp_op_CI_CI_unitstride_sbrr_C2R_dirReg
                                        ; -- End function
	.section	.AMDGPU.csdata,"",@progbits
; Kernel info:
; codeLenInByte = 10372
; NumSgprs: 70
; NumVgprs: 252
; NumAgprs: 0
; TotalNumVgprs: 252
; ScratchSize: 0
; MemoryBound: 0
; FloatMode: 240
; IeeeMode: 1
; LDSByteSize: 0 bytes/workgroup (compile time only)
; SGPRBlocks: 8
; VGPRBlocks: 31
; NumSGPRsForWavesPerEU: 70
; NumVGPRsForWavesPerEU: 252
; AccumOffset: 252
; Occupancy: 2
; WaveLimiterHint : 1
; COMPUTE_PGM_RSRC2:SCRATCH_EN: 0
; COMPUTE_PGM_RSRC2:USER_SGPR: 2
; COMPUTE_PGM_RSRC2:TRAP_HANDLER: 0
; COMPUTE_PGM_RSRC2:TGID_X_EN: 1
; COMPUTE_PGM_RSRC2:TGID_Y_EN: 0
; COMPUTE_PGM_RSRC2:TGID_Z_EN: 0
; COMPUTE_PGM_RSRC2:TIDIG_COMP_CNT: 0
; COMPUTE_PGM_RSRC3_GFX90A:ACCUM_OFFSET: 62
; COMPUTE_PGM_RSRC3_GFX90A:TG_SPLIT: 0
	.text
	.p2alignl 6, 3212836864
	.fill 256, 4, 3212836864
	.type	__hip_cuid_c19ba88fd999f0ff,@object ; @__hip_cuid_c19ba88fd999f0ff
	.section	.bss,"aw",@nobits
	.globl	__hip_cuid_c19ba88fd999f0ff
__hip_cuid_c19ba88fd999f0ff:
	.byte	0                               ; 0x0
	.size	__hip_cuid_c19ba88fd999f0ff, 1

	.ident	"AMD clang version 19.0.0git (https://github.com/RadeonOpenCompute/llvm-project roc-6.4.0 25133 c7fe45cf4b819c5991fe208aaa96edf142730f1d)"
	.section	".note.GNU-stack","",@progbits
	.addrsig
	.addrsig_sym __hip_cuid_c19ba88fd999f0ff
	.amdgpu_metadata
---
amdhsa.kernels:
  - .agpr_count:     0
    .args:
      - .actual_access:  read_only
        .address_space:  global
        .offset:         0
        .size:           8
        .value_kind:     global_buffer
      - .offset:         8
        .size:           8
        .value_kind:     by_value
      - .actual_access:  read_only
        .address_space:  global
        .offset:         16
        .size:           8
        .value_kind:     global_buffer
      - .actual_access:  read_only
        .address_space:  global
        .offset:         24
        .size:           8
        .value_kind:     global_buffer
      - .actual_access:  read_only
        .address_space:  global
        .offset:         32
        .size:           8
        .value_kind:     global_buffer
      - .offset:         40
        .size:           8
        .value_kind:     by_value
      - .actual_access:  read_only
        .address_space:  global
        .offset:         48
        .size:           8
        .value_kind:     global_buffer
      - .actual_access:  read_only
        .address_space:  global
        .offset:         56
        .size:           8
        .value_kind:     global_buffer
      - .offset:         64
        .size:           4
        .value_kind:     by_value
      - .actual_access:  read_only
        .address_space:  global
        .offset:         72
        .size:           8
        .value_kind:     global_buffer
      - .actual_access:  read_only
        .address_space:  global
        .offset:         80
        .size:           8
        .value_kind:     global_buffer
      - .actual_access:  read_only
        .address_space:  global
        .offset:         88
        .size:           8
        .value_kind:     global_buffer
      - .actual_access:  write_only
        .address_space:  global
        .offset:         96
        .size:           8
        .value_kind:     global_buffer
    .group_segment_fixed_size: 0
    .kernarg_segment_align: 8
    .kernarg_segment_size: 104
    .language:       OpenCL C
    .language_version:
      - 2
      - 0
    .max_flat_workgroup_size: 182
    .name:           fft_rtc_back_len1820_factors_10_13_7_2_wgs_182_tpt_182_halfLds_sp_op_CI_CI_unitstride_sbrr_C2R_dirReg
    .private_segment_fixed_size: 0
    .sgpr_count:     70
    .sgpr_spill_count: 0
    .symbol:         fft_rtc_back_len1820_factors_10_13_7_2_wgs_182_tpt_182_halfLds_sp_op_CI_CI_unitstride_sbrr_C2R_dirReg.kd
    .uniform_work_group_size: 1
    .uses_dynamic_stack: false
    .vgpr_count:     252
    .vgpr_spill_count: 0
    .wavefront_size: 64
amdhsa.target:   amdgcn-amd-amdhsa--gfx950
amdhsa.version:
  - 1
  - 2
...

	.end_amdgpu_metadata
